;; amdgpu-corpus repo=ROCm/Tensile kind=harvested arch=n/a opt=n/a

/******************************************/
/* Function Prefix                        */
/******************************************/



/******************************************/
/* Begin Kernel                           */
/******************************************/

// Component.Signature.SignatureDefault
.amdgcn_target "amdgcn-amd-amdhsa--gfx90a"
.text
.protected Cijk_Alik_Bljk_I8II_BH_GB_MT64x128x64_MI32x32x8x1_SE_1LDSB0_APM1_ABV0_ACED0_AF0EM8_AF1EM1_AMAS0_ASE_ASGT_ASLT_ASEM1_AAC0_BL1_BS1_CLR0_DTVA0_DVO0_ETSP_EPS1_EMLL0_FL0_GLVWA16_GLVWB16_GRPM1_GRVW16_GSU1_GSUASB_GLS0_ISA90a_IU1_K1_KLA_LBSPPA128_LBSPPB128_LPA16_LPB16_LDL1_LRVW16_LWPMn1_LDW0_FMA_MIAV0_MO40_MMFGLC_NTA0_NTB0_NTC0_NTD0_NEPBS0_NLCA1_NLCB1_ONLL1_OPLV1_PKn1_PAP1_PGR1_PLR9_SIA3_SS0_SU32_SUM0_SUS128_SCIUI1_SPO0_SRVW4_SSO0_SVW4_SNLL0_TSGRA0_TSGRB0_TT1_64_TLDS1_UMLDSA1_UMLDSB1_USFGROn1_VAW1_VSn1_VW1_VWB1_VFLRP0_WSGRA1_WSGRB1_WG64_4_1_WGM2
.globl Cijk_Alik_Bljk_I8II_BH_GB_MT64x128x64_MI32x32x8x1_SE_1LDSB0_APM1_ABV0_ACED0_AF0EM8_AF1EM1_AMAS0_ASE_ASGT_ASLT_ASEM1_AAC0_BL1_BS1_CLR0_DTVA0_DVO0_ETSP_EPS1_EMLL0_FL0_GLVWA16_GLVWB16_GRPM1_GRVW16_GSU1_GSUASB_GLS0_ISA90a_IU1_K1_KLA_LBSPPA128_LBSPPB128_LPA16_LPB16_LDL1_LRVW16_LWPMn1_LDW0_FMA_MIAV0_MO40_MMFGLC_NTA0_NTB0_NTC0_NTD0_NEPBS0_NLCA1_NLCB1_ONLL1_OPLV1_PKn1_PAP1_PGR1_PLR9_SIA3_SS0_SU32_SUM0_SUS128_SCIUI1_SPO0_SRVW4_SSO0_SVW4_SNLL0_TSGRA0_TSGRB0_TT1_64_TLDS1_UMLDSA1_UMLDSB1_USFGROn1_VAW1_VSn1_VW1_VWB1_VFLRP0_WSGRA1_WSGRB1_WG64_4_1_WGM2
.p2align 8
.type Cijk_Alik_Bljk_I8II_BH_GB_MT64x128x64_MI32x32x8x1_SE_1LDSB0_APM1_ABV0_ACED0_AF0EM8_AF1EM1_AMAS0_ASE_ASGT_ASLT_ASEM1_AAC0_BL1_BS1_CLR0_DTVA0_DVO0_ETSP_EPS1_EMLL0_FL0_GLVWA16_GLVWB16_GRPM1_GRVW16_GSU1_GSUASB_GLS0_ISA90a_IU1_K1_KLA_LBSPPA128_LBSPPB128_LPA16_LPB16_LDL1_LRVW16_LWPMn1_LDW0_FMA_MIAV0_MO40_MMFGLC_NTA0_NTB0_NTC0_NTD0_NEPBS0_NLCA1_NLCB1_ONLL1_OPLV1_PKn1_PAP1_PGR1_PLR9_SIA3_SS0_SU32_SUM0_SUS128_SCIUI1_SPO0_SRVW4_SSO0_SVW4_SNLL0_TSGRA0_TSGRB0_TT1_64_TLDS1_UMLDSA1_UMLDSB1_USFGROn1_VAW1_VSn1_VW1_VWB1_VFLRP0_WSGRA1_WSGRB1_WG64_4_1_WGM2,@function
.section .rodata,#alloc
.p2align 6
.amdhsa_kernel Cijk_Alik_Bljk_I8II_BH_GB_MT64x128x64_MI32x32x8x1_SE_1LDSB0_APM1_ABV0_ACED0_AF0EM8_AF1EM1_AMAS0_ASE_ASGT_ASLT_ASEM1_AAC0_BL1_BS1_CLR0_DTVA0_DVO0_ETSP_EPS1_EMLL0_FL0_GLVWA16_GLVWB16_GRPM1_GRVW16_GSU1_GSUASB_GLS0_ISA90a_IU1_K1_KLA_LBSPPA128_LBSPPB128_LPA16_LPB16_LDL1_LRVW16_LWPMn1_LDW0_FMA_MIAV0_MO40_MMFGLC_NTA0_NTB0_NTC0_NTD0_NEPBS0_NLCA1_NLCB1_ONLL1_OPLV1_PKn1_PAP1_PGR1_PLR9_SIA3_SS0_SU32_SUM0_SUS128_SCIUI1_SPO0_SRVW4_SSO0_SVW4_SNLL0_TSGRA0_TSGRB0_TT1_64_TLDS1_UMLDSA1_UMLDSB1_USFGROn1_VAW1_VSn1_VW1_VWB1_VFLRP0_WSGRA1_WSGRB1_WG64_4_1_WGM2
  .amdhsa_user_sgpr_kernarg_segment_ptr 1
  .amdhsa_user_sgpr_kernarg_preload_offset 0
  .amdhsa_user_sgpr_kernarg_preload_length 0
  .amdhsa_user_sgpr_count 2
  .amdhsa_accum_offset 224 // accvgpr offset
  .amdhsa_next_free_vgpr 256 // vgprs
  .amdhsa_next_free_sgpr 84 // sgprs
  .amdhsa_group_segment_fixed_size 30208 // lds bytes
  .amdhsa_private_segment_fixed_size 0
  .amdhsa_system_sgpr_workgroup_id_x 1
  .amdhsa_system_sgpr_workgroup_id_y 1
  .amdhsa_system_sgpr_workgroup_id_z 1
  .amdhsa_system_vgpr_workitem_id 0
  .amdhsa_float_denorm_mode_32 3
  .amdhsa_float_denorm_mode_16_64 3
.end_amdhsa_kernel
.text

/******************************************/
/* Optimizations and Config:              */
/******************************************/
/* ThreadTile= 16 x 2 */
/* SubGroup= 4 x 64 */
/* VectorWidthA=1 */
/* VectorWidthB=1 */
/* GlobalLoadVectorWidthA=16, GlobalLoadVectorWidthB=16 */
/* DirectToLdsA=False */
/* DirectToLdsB=False */
/* UseSgprForGRO=1 */
.amdgpu_metadata
---
amdhsa.version:
  - 1
  - 1
amdhsa.target: amdgcn-amd-amdhsa--gfx90a
amdhsa.kernels:
  - .name: Cijk_Alik_Bljk_I8II_BH_GB_MT64x128x64_MI32x32x8x1_SE_1LDSB0_APM1_ABV0_ACED0_AF0EM8_AF1EM1_AMAS0_ASE_ASGT_ASLT_ASEM1_AAC0_BL1_BS1_CLR0_DTVA0_DVO0_ETSP_EPS1_EMLL0_FL0_GLVWA16_GLVWB16_GRPM1_GRVW16_GSU1_GSUASB_GLS0_ISA90a_IU1_K1_KLA_LBSPPA128_LBSPPB128_LPA16_LPB16_LDL1_LRVW16_LWPMn1_LDW0_FMA_MIAV0_MO40_MMFGLC_NTA0_NTB0_NTC0_NTD0_NEPBS0_NLCA1_NLCB1_ONLL1_OPLV1_PKn1_PAP1_PGR1_PLR9_SIA3_SS0_SU32_SUM0_SUS128_SCIUI1_SPO0_SRVW4_SSO0_SVW4_SNLL0_TSGRA0_TSGRB0_TT1_64_TLDS1_UMLDSA1_UMLDSB1_USFGROn1_VAW1_VSn1_VW1_VWB1_VFLRP0_WSGRA1_WSGRB1_WG64_4_1_WGM2
    .symbol: 'Cijk_Alik_Bljk_I8II_BH_GB_MT64x128x64_MI32x32x8x1_SE_1LDSB0_APM1_ABV0_ACED0_AF0EM8_AF1EM1_AMAS0_ASE_ASGT_ASLT_ASEM1_AAC0_BL1_BS1_CLR0_DTVA0_DVO0_ETSP_EPS1_EMLL0_FL0_GLVWA16_GLVWB16_GRPM1_GRVW16_GSU1_GSUASB_GLS0_ISA90a_IU1_K1_KLA_LBSPPA128_LBSPPB128_LPA16_LPB16_LDL1_LRVW16_LWPMn1_LDW0_FMA_MIAV0_MO40_MMFGLC_NTA0_NTB0_NTC0_NTD0_NEPBS0_NLCA1_NLCB1_ONLL1_OPLV1_PKn1_PAP1_PGR1_PLR9_SIA3_SS0_SU32_SUM0_SUS128_SCIUI1_SPO0_SRVW4_SSO0_SVW4_SNLL0_TSGRA0_TSGRB0_TT1_64_TLDS1_UMLDSA1_UMLDSB1_USFGROn1_VAW1_VSn1_VW1_VWB1_VFLRP0_WSGRA1_WSGRB1_WG64_4_1_WGM2.kd'
    .language:                   OpenCL C
    .language_version:
      - 2
      - 0
    .args:
      - .name:            Tensor2dSizeA
        .size:            8
        .offset:          0
        .value_kind:      by_value
        .value_type:      u64
      - .name:            Tensor2dSizeB
        .size:            8
        .offset:          8
        .value_kind:      by_value
        .value_type:      u64
      - .name:            AddressD
        .size:            8
        .offset:          16
        .value_kind:      by_value
        .value_type:      u64
      - .name:            AddressC
        .size:            8
        .offset:          24
        .value_kind:      by_value
        .value_type:      u64
      - .name:            AddressA
        .size:            8
        .offset:          32
        .value_kind:      by_value
        .value_type:      u64
      - .name:            AddressB
        .size:            8
        .offset:          40
        .value_kind:      by_value
        .value_type:      u64
      - .name:            OffsetD
        .size:            8
        .offset:          48
        .value_kind:      by_value
        .value_type:      u64
      - .name:            OffsetC
        .size:            8
        .offset:          56
        .value_kind:      by_value
        .value_type:      u64
      - .name:            OffsetA
        .size:            8
        .offset:          64
        .value_kind:      by_value
        .value_type:      u64
      - .name:            OffsetB
        .size:            8
        .offset:          72
        .value_kind:      by_value
        .value_type:      u64
      - .name:            Alpha
        .size:            4
        .offset:          80
        .value_kind:      by_value
        .value_type:      u32
      - .name:            Beta
        .size:            4
        .offset:          84
        .value_kind:      by_value
        .value_type:      u32
      - .name:            StridesD
        .size:            8
        .offset:          88
        .value_kind:      by_value
        .value_type:      u64
      - .name:            StridesC
        .size:            8
        .offset:          96
        .value_kind:      by_value
        .value_type:      u64
      - .name:            StridesA
        .size:            8
        .offset:          104
        .value_kind:      by_value
        .value_type:      u64
      - .name:            StridesB
        .size:            8
        .offset:          112
        .value_kind:      by_value
        .value_type:      u64
      - .name:            SizesFree
        .size:            12
        .offset:          120
        .value_kind:      by_value
        .value_type:      u96
      - .name:            SizesSum
        .size:            4
        .offset:          132
        .value_kind:      by_value
        .value_type:      u32
      - .name:            OrigStaggerUIter
        .size:            4
        .offset:          136
        .value_kind:      by_value
        .value_type:      u32
      - .name:            NumWorkGroups0
        .size:            4
        .offset:          140
        .value_kind:      by_value
        .value_type:      u32
      - .name:            NumWorkGroups1
        .size:            4
        .offset:          144
        .value_kind:      by_value
        .value_type:      u32
      - .name:            MagicNumberProblemNumGroupTiles0
        .size:            4
        .offset:          148
        .value_kind:      by_value
        .value_type:      u32
      - .name:            MagicShiftProblemNumGroupTiles0
        .size:            4
        .offset:          152
        .value_kind:      by_value
        .value_type:      u32
      - .name:            GridNumWorkGroups0
        .size:            4
        .offset:          156
        .value_kind:      by_value
        .value_type:      u32
      - .name:            NumFullBlocks
        .size:            4
        .offset:          160
        .value_kind:      by_value
        .value_type:      u32
      - .name:            WgmRemainder1
        .size:            4
        .offset:          164
        .value_kind:      by_value
        .value_type:      u32
      - .name:            MagicNumberWgmRemainder1
        .size:            4
        .offset:          168
        .value_kind:      by_value
        .value_type:      u32
    .group_segment_fixed_size:   30208
    .kernarg_segment_align:      8
    .kernarg_segment_size:       176
    .max_flat_workgroup_size:    256
    .private_segment_fixed_size: 0
    .sgpr_count:                 84
    .sgpr_spill_count:           0
    .vgpr_count:                 224
    .vgpr_spill_count:           0
    .wavefront_size:             64
...
.end_amdgpu_metadata
Cijk_Alik_Bljk_I8II_BH_GB_MT64x128x64_MI32x32x8x1_SE_1LDSB0_APM1_ABV0_ACED0_AF0EM8_AF1EM1_AMAS0_ASE_ASGT_ASLT_ASEM1_AAC0_BL1_BS1_CLR0_DTVA0_DVO0_ETSP_EPS1_EMLL0_FL0_GLVWA16_GLVWB16_GRPM1_GRVW16_GSU1_GSUASB_GLS0_ISA90a_IU1_K1_KLA_LBSPPA128_LBSPPB128_LPA16_LPB16_LDL1_LRVW16_LWPMn1_LDW0_FMA_MIAV0_MO40_MMFGLC_NTA0_NTB0_NTC0_NTD0_NEPBS0_NLCA1_NLCB1_ONLL1_OPLV1_PKn1_PAP1_PGR1_PLR9_SIA3_SS0_SU32_SUM0_SUS128_SCIUI1_SPO0_SRVW4_SSO0_SVW4_SNLL0_TSGRA0_TSGRB0_TT1_64_TLDS1_UMLDSA1_UMLDSB1_USFGROn1_VAW1_VSn1_VW1_VWB1_VFLRP0_WSGRA1_WSGRB1_WG64_4_1_WGM2:

/******************************************/
/* Asm syntax workarounds                 */
/******************************************/
.macro _v_add_co_u32 dst:req, cc:req, src0:req, src1:req, dpp=
   v_add_co_u32 \dst, \cc, \src0, \src1 \dpp
.endm

.macro _v_add_u32 dst:req, src0:req, src1:req, dpp=
   v_add_u32 \dst, \src0, \src1 \dpp
.endm

.macro _v_add_i32 dst:req, src0:req, src1:req, dpp=
   v_add_i32 \dst, \src0, \src1 \dpp
.endm

.macro _v_addc_co_u32 dst:req, ccOut:req, src0:req, ccIn:req, src1:req, dpp=
   v_addc_co_u32 \dst, \ccOut, \src0, \ccIn, \src1 \dpp
.endm

.macro _v_sub_co_u32 dst:req, cc:req, src0:req, src1:req, dpp=
   v_sub_co_u32 \dst, \cc, \src0, \src1 \dpp
.endm

.macro _v_sub_u32 dst:req, src0:req, src1:req, dpp=
   v_sub_u32 \dst, \src0, \src1 \dpp
.endm

.macro _v_sub_i32 dst:req, src0:req, src1:req, dpp=
   v_sub_i32 \dst, \src0, \src1 \dpp
.endm

.macro _v_add_lshl_u32 dst:req, src0:req, src1:req, shiftCnt:req
    v_add_lshl_u32 \dst, \src0, \src1, \shiftCnt
.endm

.macro _v_lshl_add_u32 dst:req, src0:req, src1:req, shiftCnt:req
    v_lshl_add_u32 \dst, \src0, \src1, \shiftCnt
.endm

.macro _v_lshl_or_b32 dst:req, src0:req, shiftCnt:req, src1:req
    v_lshl_or_b32 \dst, \src0, \shiftCnt, \src1
.endm

.macro _v_dot2acc_f32_f16 dst, src0, src1
v_dot2c_f32_f16 \dst, \src0, \src1
.endm

.macro _v_cmpx_lt_i16 dst, src0, src1=
   v_cmpx_lt_i16 \dst, \src0, \src1 
.endm

.macro _v_cmpx_lt_i32 dst, src0, src1=
   v_cmpx_lt_i32 \dst, \src0, \src1 
.endm

.macro _v_cmpx_lt_i64 dst, src0, src1=
   v_cmpx_lt_i64 \dst, \src0, \src1 
.endm

.macro _v_cmpx_lt_u16 dst, src0, src1=
   v_cmpx_lt_u16 \dst, \src0, \src1 
.endm

.macro _v_cmpx_lt_u32 dst, src0, src1=
   v_cmpx_lt_u32 \dst, \src0, \src1 
.endm

.macro _v_cmpx_lt_u64 dst, src0, src1=
   v_cmpx_lt_u64 \dst, \src0, \src1 
.endm

.macro _v_cmpx_eq_i16 dst, src0, src1=
   v_cmpx_eq_i16 \dst, \src0, \src1 
.endm

.macro _v_cmpx_eq_i32 dst, src0, src1=
   v_cmpx_eq_i32 \dst, \src0, \src1 
.endm

.macro _v_cmpx_eq_i64 dst, src0, src1=
   v_cmpx_eq_i64 \dst, \src0, \src1 
.endm

.macro _v_cmpx_eq_u16 dst, src0, src1=
   v_cmpx_eq_u16 \dst, \src0, \src1 
.endm

.macro _v_cmpx_eq_u32 dst, src0, src1=
   v_cmpx_eq_u32 \dst, \src0, \src1 
.endm

.macro _v_cmpx_eq_u64 dst, src0, src1=
   v_cmpx_eq_u64 \dst, \src0, \src1 
.endm

.macro _v_cmpx_le_i16 dst, src0, src1=
   v_cmpx_le_i16 \dst, \src0, \src1 
.endm

.macro _v_cmpx_le_i32 dst, src0, src1=
   v_cmpx_le_i32 \dst, \src0, \src1 
.endm

.macro _v_cmpx_le_i64 dst, src0, src1=
   v_cmpx_le_i64 \dst, \src0, \src1 
.endm

.macro _v_cmpx_le_u16 dst, src0, src1=
   v_cmpx_le_u16 \dst, \src0, \src1 
.endm

.macro _v_cmpx_le_u32 dst, src0, src1=
   v_cmpx_le_u32 \dst, \src0, \src1 
.endm

.macro _v_cmpx_le_u64 dst, src0, src1=
   v_cmpx_le_u64 \dst, \src0, \src1 
.endm

.macro _v_cmpx_gt_i16 dst, src0, src1=
   v_cmpx_gt_i16 \dst, \src0, \src1 
.endm

.macro _v_cmpx_gt_i32 dst, src0, src1=
   v_cmpx_gt_i32 \dst, \src0, \src1 
.endm

.macro _v_cmpx_gt_i64 dst, src0, src1=
   v_cmpx_gt_i64 \dst, \src0, \src1 
.endm

.macro _v_cmpx_gt_u16 dst, src0, src1=
   v_cmpx_gt_u16 \dst, \src0, \src1 
.endm

.macro _v_cmpx_gt_u32 dst, src0, src1=
   v_cmpx_gt_u32 \dst, \src0, \src1 
.endm

.macro _v_cmpx_gt_u64 dst, src0, src1=
   v_cmpx_gt_u64 \dst, \src0, \src1 
.endm

.macro _v_cmpx_ne_i16 dst, src0, src1=
   v_cmpx_ne_i16 \dst, \src0, \src1 
.endm

.macro _v_cmpx_ne_i32 dst, src0, src1=
   v_cmpx_ne_i32 \dst, \src0, \src1 
.endm

.macro _v_cmpx_ne_i64 dst, src0, src1=
   v_cmpx_ne_i64 \dst, \src0, \src1 
.endm

.macro _v_cmpx_ne_u16 dst, src0, src1=
   v_cmpx_ne_u16 \dst, \src0, \src1 
.endm

.macro _v_cmpx_ne_u32 dst, src0, src1=
   v_cmpx_ne_u32 \dst, \src0, \src1 
.endm

.macro _v_cmpx_ne_u64 dst, src0, src1=
   v_cmpx_ne_u64 \dst, \src0, \src1 
.endm

.macro _v_cmpx_lg_i16 dst, src0, src1=
   v_cmpx_lg_i16 \dst, \src0, \src1 
.endm

.macro _v_cmpx_lg_i32 dst, src0, src1=
   v_cmpx_lg_i32 \dst, \src0, \src1 
.endm

.macro _v_cmpx_lg_i64 dst, src0, src1=
   v_cmpx_lg_i64 \dst, \src0, \src1 
.endm

.macro _v_cmpx_lg_u16 dst, src0, src1=
   v_cmpx_lg_u16 \dst, \src0, \src1 
.endm

.macro _v_cmpx_lg_u32 dst, src0, src1=
   v_cmpx_lg_u32 \dst, \src0, \src1 
.endm

.macro _v_cmpx_lg_u64 dst, src0, src1=
   v_cmpx_lg_u64 \dst, \src0, \src1 
.endm

.macro _v_cmpx_ge_i16 dst, src0, src1=
   v_cmpx_ge_i16 \dst, \src0, \src1 
.endm

.macro _v_cmpx_ge_i32 dst, src0, src1=
   v_cmpx_ge_i32 \dst, \src0, \src1 
.endm

.macro _v_cmpx_ge_i64 dst, src0, src1=
   v_cmpx_ge_i64 \dst, \src0, \src1 
.endm

.macro _v_cmpx_ge_u16 dst, src0, src1=
   v_cmpx_ge_u16 \dst, \src0, \src1 
.endm

.macro _v_cmpx_ge_u32 dst, src0, src1=
   v_cmpx_ge_u32 \dst, \src0, \src1 
.endm

.macro _v_cmpx_ge_u64 dst, src0, src1=
   v_cmpx_ge_u64 \dst, \src0, \src1 
.endm

.macro _v_cmpx_o_i16 dst, src0, src1=
   v_cmpx_o_i16 \dst, \src0, \src1 
.endm

.macro _v_cmpx_o_i32 dst, src0, src1=
   v_cmpx_o_i32 \dst, \src0, \src1 
.endm

.macro _v_cmpx_o_i64 dst, src0, src1=
   v_cmpx_o_i64 \dst, \src0, \src1 
.endm

.macro _v_cmpx_o_u16 dst, src0, src1=
   v_cmpx_o_u16 \dst, \src0, \src1 
.endm

.macro _v_cmpx_o_u32 dst, src0, src1=
   v_cmpx_o_u32 \dst, \src0, \src1 
.endm

.macro _v_cmpx_o_u64 dst, src0, src1=
   v_cmpx_o_u64 \dst, \src0, \src1 
.endm

.macro _v_cmpx_u_i16 dst, src0, src1=
   v_cmpx_u_i16 \dst, \src0, \src1 
.endm

.macro _v_cmpx_u_i32 dst, src0, src1=
   v_cmpx_u_i32 \dst, \src0, \src1 
.endm

.macro _v_cmpx_u_i64 dst, src0, src1=
   v_cmpx_u_i64 \dst, \src0, \src1 
.endm

.macro _v_cmpx_u_u16 dst, src0, src1=
   v_cmpx_u_u16 \dst, \src0, \src1 
.endm

.macro _v_cmpx_u_u32 dst, src0, src1=
   v_cmpx_u_u32 \dst, \src0, \src1 
.endm

.macro _v_cmpx_u_u64 dst, src0, src1=
   v_cmpx_u_u64 \dst, \src0, \src1 
.endm
.macro _v_mac_f32 c:req, a:req, b:req
    v_fmac_f32 \c, \a, \b
.endmacro

/* scale global load macros */
.macro _s_load_b32 dst base offset
    s_load_dword \dst \base \offset
.endm

.macro _s_load_b64 dst base offset
    s_load_dwordx2 \dst \base \offset
.endm

.macro _s_load_b128 dst base offset
    s_load_dwordx4 \dst \base \offset
.endm

.macro _s_load_b256 dst base offset
    s_load_dwordx8 \dst \base \offset
.endm

.macro _s_load_b512 dst base offset
    s_load_dwordx16 \dst \base \offset
.endm


/* ds operation macros */
.macro _ds_load_u8 dst src offset
    ds_read_u8 \dst \src \offset
.endm

.macro _ds_load_u8_d16_hi dst src offset
    ds_read_u8_d16_hi \dst \src \offset
.endm

.macro _ds_load_u16 dst src offset
    ds_read_u16 \dst \src \offset
.endm

.macro _ds_load_u16_d16_hi dst src offset
    ds_read_u16_d16_hi \dst \src \offset
.endm

.macro _ds_load_b32 dst src offset
    ds_read_b32 \dst \src \offset
.endm

.macro _ds_load_b64 dst src offset
    ds_read_b64 \dst \src \offset
.endm

.macro _ds_load_b128 dst src offset
    ds_read_b128 \dst \src \offset
.endm

.macro _ds_store_b8 dst src offset
    ds_write_b8 \dst \src \offset
.endm

.macro _ds_store_b8_d16_hi dst src offset
    ds_write_b8_d16_hi \dst \src \offset
.endm

.macro _ds_store_b16 dst src offset
    ds_write_b16 \dst \src \offset
.endm

.macro _ds_store_b16_d16_hi dst src offset
    ds_write_b16_d16_hi \dst \src \offset
.endm

.macro _ds_store_b32 dst src offset
    ds_write_b32 \dst \src \offset
.endm

.macro _ds_store_b64 dst src offset
    ds_write_b64 \dst \src \offset
.endm

.macro _ds_store_b128 dst src offset
    ds_write_b128 \dst \src \offset
.endm

.macro _ds_load2_b32 dst src offset1 offset2
    ds_read2_b32 \dst \src \offset1 \offset2
.endm

.macro _ds_load2_b64 dst src offset1 offset2
    ds_read2_b64 \dst \src \offset1 \offset2
.endm

.macro _ds_store2_b32 dst src offset1 offset2
    ds_write2_b32 \dst \src \offset1 \offset2
.endm

.macro _ds_store2_b64 dst src offset1 offset2
    ds_write2_b64 \dst \src \offset1 \offset2
.endm


/* buffer memory operation macros */
.macro _buffer_load_b32 dst voffset base soffset offen ioffset md0 md1 md2
    buffer_load_dword \dst \voffset \base \soffset \offen \ioffset \md0 \md1 \md2
.endm

.macro _buffer_load_b64 dst voffset base soffset offen ioffset md0 md1 md2
    buffer_load_dwordx2 \dst \voffset \base \soffset \offen \ioffset \md0 \md1 \md2
.endm

.macro _buffer_load_b96 dst voffset base soffset offen ioffset md0 md1 md2
    buffer_load_dwordx3 \dst \voffset \base \soffset \offen \ioffset \md0 \md1 \md2
.endm

.macro _buffer_load_b128 dst voffset base soffset offen ioffset md0 md1 md2
    buffer_load_dwordx4 \dst \voffset \base \soffset \offen \ioffset \md0 \md1 \md2
.endm

.macro _buffer_load_d16_b16 dst voffset base soffset offen ioffset md0 md1 md2
    buffer_load_short_d16 \dst \voffset \base \soffset \offen \ioffset \md0 \md1 \md2
.endm

.macro _buffer_load_d16_hi_b16 dst voffset base soffset offen ioffset md0 md1 md2
    buffer_load_short_d16_hi \dst \voffset \base \soffset \offen \ioffset \md0 \md1 \md2
.endm

.macro _buffer_load_d16_u8 dst voffset base soffset offen ioffset md0 md1 md2
    buffer_load_ubyte_d16 \dst \voffset \base \soffset \offen \ioffset \md0 \md1 \md2
.endm

.macro _buffer_load_d16_hi_u8 dst voffset base soffset offen ioffset md0 md1 md2
    buffer_load_ubyte_d16_hi \dst \voffset \base \soffset \offen \ioffset \md0 \md1 \md2
.endm

.macro _buffer_load_u16 dst voffset base soffset offen ioffset md0 md1 md2
    buffer_load_ushort \dst \voffset \base \soffset \offen \ioffset \md0 \md1 \md2
.endm

.macro _buffer_load_b32_dtl voffset base soffset offen ioffset md0 md1 md2
    buffer_load_dword \voffset \base \soffset \offen \ioffset \md0 \md1 \md2
.endm

.macro _buffer_load_b64_dtl voffset base soffset offen ioffset md0 md1 md2
    buffer_load_dwordx2 \voffset \base \soffset \offen \ioffset \md0 \md1 \md2
.endm

.macro _buffer_load_b128_dtl voffset base soffset offen ioffset md0 md1 md2
    buffer_load_dwordx4 \voffset \base \soffset \offen \ioffset \md0 \md1 \md2
.endm

.macro _buffer_load_u16_dtl voffset base soffset offen ioffset md0 md1 md2
    buffer_load_ushort \voffset \base \soffset \offen \ioffset \md0 \md1 \md2
.endm

.macro _buffer_store_b32 src voffset base soffset offen ioffset md0 md1 md2
    buffer_store_dword \src \voffset \base \soffset \offen \ioffset \md0 \md1 \md2
.endm

.macro _buffer_store_b64 src voffset base soffset offen ioffset md0 md1 md2
    buffer_store_dwordx2 \src \voffset \base \soffset \offen \ioffset \md0 \md1 \md2
.endm

.macro _buffer_store_b96 src voffset base soffset offen ioffset md0 md1 md2
    buffer_store_dwordx3 \src \voffset \base \soffset \offen \ioffset \md0 \md1 \md2
.endm

.macro _buffer_store_b128 src voffset base soffset offen ioffset md0 md1 md2
    buffer_store_dwordx4 \src \voffset \base \soffset \offen \ioffset \md0 \md1 \md2
.endm

.macro _buffer_store_b16 src voffset base soffset offen ioffset md0 md1 md2
    buffer_store_short \src \voffset \base \soffset \offen \ioffset \md0 \md1 \md2
.endm

.macro _buffer_store_d16_hi_b16 src voffset base soffset offen ioffset md0 md1 md2
    buffer_store_short_d16_hi \src \voffset \base \soffset \offen \ioffset \md0 \md1 \md2
.endm

.macro _buffer_store_b8 src voffset base soffset offen ioffset md0 md1 md2
    buffer_store_byte \src \voffset \base \soffset \offen \ioffset \md0 \md1 \md2
.endm

.macro _buffer_store_d16_hi_b8 src voffset base soffset offen ioffset md0 md1 md2
    buffer_store_byte_d16_hi \src \voffset \base \soffset \offen \ioffset \md0 \md1 \md2
.endm

.macro _buffer_atomic_cmpswap_b32 dst voffset base soffset offen ioffset md0 md1 md2
    buffer_atomic_cmpswap \dst \voffset \base \soffset \offen \ioffset \md0 \md1 \md2
.endm

.macro _buffer_atomic_cmpswap_b64 dst voffset base soffset offen ioffset md0 md1 md2
    buffer_atomic_cmpswap_x2 \dst \voffset \base \soffset \offen \ioffset \md0 \md1 \md2
.endm


/* buffer memory operation macros */
.macro _global_load_b32 dst base src ioffset md0 md1 md2
    global_load_dword \dst \base \src \ioffset \md0 \md1 \md2
.endm

.macro _global_load_b64 dst base src ioffset md0 md1 md2
    global_load_dwordx2 \dst \base \src \ioffset \md0 \md1 \md2
.endm

.macro _global_load_b96 dst base src ioffset md0 md1 md2
    global_load_dwordx3 \dst \base \src \ioffset \md0 \md1 \md2
.endm

.macro _global_load_b128 dst base src ioffset md0 md1 md2
    global_load_dwordx4 \dst \base \src \ioffset \md0 \md1 \md2
.endm

.macro _global_load_d16_b16 dst base src ioffset md0 md1 md2
    global_load_short_d16 \dst \base \src \ioffset \md0 \md1 \md2
.endm

.macro _global_load_d16_hi_b16 dst base src ioffset md0 md1 md2
    global_load_short_d16_hi \dst \base \src \ioffset \md0 \md1 \md2
.endm

.macro _global_load_d16_u8 dst base src ioffset md0 md1 md2
    global_load_ubyte_d16 \dst \base \src \ioffset \md0 \md1 \md2
.endm

.macro _global_load_d16_hi_u8 dst base src ioffset md0 md1 md2
    global_load_ubyte_d16_hi \dst \base \src \ioffset \md0 \md1 \md2
.endm

.macro _global_load_u16 dst base src ioffset md0 md1 md2
    global_load_ushort \dst \base \src \ioffset \md0 \md1 \md2
.endm

.macro _global_store_b32 base src src2 md0 md1 md2
    global_store_dword \base \src \src2 \md0 \md1 \md2
.endm

.macro _global_store_b64 base src src2 md0 md1 md2
    global_store_dwordx2 \base \src \src2 \md0 \md1 \md2
.endm

.macro _global_store_b96 base src src2 md0 md1 md2
    global_store_dwordx3 \base \src \src2 \md0 \md1 \md2
.endm

.macro _global_store_b128 base src src2 md0 md1 md2
    global_store_dwordx4 \base \src \src2 \md0 \md1 \md2
.endm

.macro _global_store_d16_b16 base src src2 md0 md1 md2
    global_store_short \base \src \src2 \md0 \md1 \md2
.endm

.macro _global_store_d16_hi_b16 base src src2 md0 md1 md2
    global_store_short_d16_hi \base \src \src2 \md0 \md1 \md2
.endm

.macro _global_store_d16_u8 base src src2 md0 md1 md2
    global_store_ubyte_d16 \base \src \src2 \md0 \md1 \md2
.endm

.macro _global_store_d16_hi_u8 base src src2 md0 md1 md2
    global_store_ubyte_d16_hi \base \src \src2 \md0 \md1 \md2
.endm

.macro _global_store_u16 base src src2 md0 md1 md2
    global_store_ushort \base \src \src2 \md0 \md1 \md2
.endm

.macro _global_atomic_cmpswap_b32 tmp base data src ioffset md
    global_atomic_cmpswap \tmp \base \data \src \ioffset \md
.endm

.macro _global_atomic_cmpswap_b64 tmp base data src ioffset md
    global_atomic_cmpswap_x2 \tmp \base \data \src \ioffset \md
.endm


/******************************************/
/* Magic div and mod functions            */
/******************************************/
.macro V_MAGIC_DIV dstIdx:req, dividend:req, magicNumber:req, magicShift:req, magicA:req
    v_mul_hi_u32 v[\dstIdx+1], \dividend, \magicNumber
    v_mul_lo_u32 v[\dstIdx+0], \dividend, \magicA
    _v_add_u32 v[\dstIdx+0], v[\dstIdx+0], v[\dstIdx+1]
    v_lshrrev_b32 v[\dstIdx+0], \magicShift, v[\dstIdx+0]
.endm

/******************************************/
/* VGPR Assignments                       */
/******************************************/
/* ValuC range: [0-0), serializedStore enabled */
.set vgprValuC, 0
/* ValuA/B   Xn=PLR buffer idx,  In=InnerUnroll idx */
.set vgprValuA_X0_I0, 0
.set vgprValuA_X1_I0, 1
.set vgprValuA_X2_I0, 2
.set vgprValuA_X3_I0, 3
.set vgprValuA_X4_I0, 4
.set vgprValuA_X5_I0, 5
.set vgprValuA_X6_I0, 6
.set vgprValuA_X7_I0, 7
.set vgprG2LA, 28
.set vgprValuB_X0_I0, 8
.set vgprValuB_X1_I0, 10
.set vgprValuB_X2_I0, 12
.set vgprValuB_X3_I0, 14
.set vgprValuB_X4_I0, 16
.set vgprValuB_X5_I0, 18
.set vgprValuB_X6_I0, 20
.set vgprValuB_X7_I0, 22
.set vgprG2LB, 32
.set vgprLocalWriteAddrA, 24
.set vgprLocalWriteAddrB, 25
.set vgprGlobalReadOffsetA, 26
.set vgprGlobalReadOffsetB, 27
.set vgprLocalReadAddrA, 40
.set vgprLocalReadAddrB, 41
.set vgprSerial, 42
/* Num VGPR=224 */
/* Num AccVGPR=32 */

/******************************************/
/* SGPR Assignments                       */
/******************************************/
.set sgprKernArgAddress, 0 // (2)
.set sgprWorkGroup0, 2 // (1)
.set sgprWorkGroup1, 3 // (1)
.set sgprWorkGroup2, 4 // (1)
.set sgprLoopCounterL, 5 // (1)
.set sgprOrigLoopCounter, 6 // (1)
.set sgprTailLoopCounter, 7 // (1)
.set sgprSrdA, 8 // (4)
.set sgprSrdB, 12 // (4)
.set sgprSrdD, 16 // (4)
.set sgprSrdC, 20 // (4)
.set sgprTensor2dSizeA, 24 // (2)
.set sgprTensor2dSizeB, 26 // (2)
.set sgprAddressD, 28 // (2)
.set sgprAddressC, 30 // (2)
.set sgprAddressA, 32 // (2)
.set sgprAddressB, 34 // (2)
.set sgprOffsetD, 36 // (2)
.set sgprOffsetC, 38 // (2)
.set sgprOffsetA, 40 // (2)
.set sgprOffsetB, 42 // (2)
.set sgprAlpha, 44 // (1)
.set sgprBeta, 45 // (1)
.set sgprStridesD, 46 // (2)
.set sgprStridesC, 48 // (2)
.set sgprStridesA, 50 // (2)
.set sgprStridesB, 52 // (2)
.set sgprSizesFree, 54 // (3)
.set sgprSizesSum, 57 // (1)
.set sgprOrigStaggerUIter, 58 // (1)
.set sgprNumWorkGroups0, 59 // (1)
.set sgprNumWorkGroups1, 60 // (1)
.set sgprMagicNumberProblemNumGroupTiles0, 61 // (1)
.set sgprMagicShiftProblemNumGroupTiles0, 62 // (1)
.set sgprGridNumWorkGroups0, 63 // (1)
.set sgprNumFullBlocks, 64 // (1)
.set sgprWgmRemainder1, 65 // (1)
.set sgprMagicNumberWgmRemainder1, 66 // (1)
.set sgprShadowLimitA, 36 // (2)
.set sgprShadowLimitB, 38 // (2)
.set sgprStaggerUIter, 40 // (1)
.set sgprWrapUA, 41 // (2)
.set sgprWrapUB, 67 // (2)
.set sgprSerialWorkGroupIter, 43 // (1)
.set sgprPrevWorkGroup0, 69 // (1)
.set sgprPrevWorkGroup1, 70 // (1)
.set sgprPreLoopLWVmcntCase, 71 // (1)
.set sgprGlobalReadIncsA, 72 // (1)
.set sgprGlobalReadIncsB, 73 // (1)
.set sgprScalarGlobalReadOffsetB, 74 // (1)
/* max SGPR=84 */

/* Size Assignments */
.set sgprSizeI, sgprSizesFree+0
.set sgprSizeJ, sgprSizesFree+1
.set sgprSizeK, sgprSizesFree+2
.set sgprSizeL, sgprSizesSum+0

/* Stride Assignments */
.set constStrideD0I, 1
.set sgprStrideD1J, sgprStridesD+0
.set sgprStrideDK, sgprStridesD+1
.set constStrideC0I, 1
.set sgprStrideC1J, sgprStridesC+0
.set sgprStrideCK, sgprStridesC+1
.set constStrideAL, 1
.set sgprStrideA0I, sgprStridesA+0
.set sgprStrideAK, sgprStridesA+1
.set constStrideBL, 1
.set sgprStrideB1J, sgprStridesB+0
.set sgprStrideBK, sgprStridesB+1

.set MT0, 64
.set MT1, 128
.set DepthU, 64
.set GSU, 1
.set BpeA, 1
.set BpeALog2, 0
.set BpeB, 1
.set BpeBLog2, 0
/* Number of elements to shift-left SRD */
.set SrdShiftLeftA, 16
.set SrdShiftLeftB, 16
/* 2GB limit - set offsets to -1 to exceed this and clamp */
.set BufferLimitA, 0xffffffff
.set BufferLimitB, 0xffffffff
.set BufferOOB, 0xfffff000

/******************************************/
/* Bits 127:96 of SRD.                    */
/* hex: 0x00020000                        */
/* dst_sel_x (3b): 0                      */
/* dst_sel_y (3b): 0                      */
/* dst_sel_z (3b): 0                      */
/* dst_sel_w (3b): 0                      */
/* num_format (3b): 0                     */
/* data_format (4b): 4                    */
/* user_vm_enable (1b): 0                 */
/* user_vm_mode (1b): 0                   */
/* index_stride (2b): 0                   */
/* add_tid_enable (1b): 0                 */
/* _unusedA (3b): 0                       */
/* nv (1b): 0                             */
/* _unusedB (2b): 0                       */
/* type (2b): 0                           */
/******************************************/
.set Srd127_96, 0x00020000

/* Global Offset A */
.macro GLOBAL_OFFSET_A vgprAddr:req vgprOffsetL:req vgprOffset0I:req vgprTmp:req
v_mul_lo_u32 v[\vgprTmp+0], s[sgprStrideA0I], v[\vgprOffset0I] // mul d1 lower
_v_add_co_u32 v[\vgprAddr+0], vcc, v[\vgprOffsetL], v[\vgprTmp+0] // accumulate K lower
_v_add_u32 v[\vgprAddr+0], 0x10, v[\vgprAddr+0]    // add prepad for pointer shift
                                                   // offset *= bytes/element (multiplier is 1, do nothing)
.endm

/* Global Offset B */
.macro GLOBAL_OFFSET_B vgprAddr:req vgprOffsetL:req vgprOffset1J:req vgprTmp:req
v_mul_lo_u32 v[\vgprTmp+0], s[sgprStrideB1J], v[\vgprOffset1J] // mul d1 lower
_v_add_co_u32 v[\vgprAddr+0], vcc, v[\vgprOffsetL], v[\vgprTmp+0] // accumulate K lower
_v_add_u32 v[\vgprAddr+0], 0x10, v[\vgprAddr+0]    // add prepad for pointer shift
                                                   // offset *= bytes/element (multiplier is 1, do nothing)
.endm

/******************************************/
/* Dynamic Scalar Divide: vQuotient=vDividend/vDivisor; vRemainder=vDividend%vDivisor; */
/******************************************/
.macro DYNAMIC_VECTOR_DIVIDE vQuotient vRemainder vDividend vDivisor vTmp0 vTmp1 sTmp
v_cvt_f32_u32 v[\vQuotient], v[\vDivisor]          // 
v_rcp_f32 v[\vQuotient], v[\vQuotient]             // 
v_mul_f32 v[\vQuotient], 0x4f800000, v[\vQuotient] // 
v_cvt_u32_f32 v[\vQuotient], v[\vQuotient]         // 
v_mul_lo_u32 v[\vRemainder], v[\vDivisor], v[\vQuotient] // 
v_mul_hi_u32 v[\vTmp0], v[\vDivisor], v[\vQuotient] // 
_v_sub_co_u32 v[\vTmp1], vcc, 0x0, v[\vRemainder]  // 
v_cmp_ne_i32 s[\sTmp:\sTmp+1], 0x0, v[\vTmp0]      // 
v_cndmask_b32 v[\vRemainder], v[\vTmp1], v[\vRemainder], s[\sTmp:\sTmp+1] // 
v_mul_hi_u32 v[\vRemainder], v[\vRemainder], v[\vQuotient] // 
_v_sub_co_u32 v[\vTmp0], vcc, v[\vQuotient], v[\vRemainder] // 
_v_add_co_u32 v[\vQuotient], vcc, v[\vQuotient], v[\vRemainder] // 
v_cndmask_b32 v[\vQuotient], v[\vQuotient], v[\vTmp0], s[\sTmp:\sTmp+1] // 
v_mul_hi_u32 v[\vQuotient], v[\vQuotient], v[\vDividend] // 
v_mul_lo_u32 v[\vRemainder], v[\vQuotient], v[\vDivisor] // 
_v_sub_co_u32 v[\vTmp0], vcc, v[\vDividend], v[\vRemainder] // 
v_cmp_ge_u32 s[\sTmp:\sTmp+1], v[\vDividend], v[\vRemainder] // 
_v_add_co_u32 v[\vRemainder], vcc, 0x1, v[\vQuotient] // 
_v_add_co_u32 v[\vTmp1], vcc, -1, v[\vQuotient]    // 
v_cmp_le_u32 vcc, v[\vDivisor], v[\vTmp0]          // 
s_and_b64 vcc, s[\sTmp:\sTmp+1], vcc               // 
v_cndmask_b32 v[\vQuotient], v[\vQuotient], v[\vRemainder], vcc // 
v_cndmask_b32 v[\vQuotient], v[\vTmp1], v[\vQuotient], s[\sTmp:\sTmp+1] // 
v_cmp_ne_i32 vcc, 0x0, v[\vDivisor]                // 
v_cndmask_b32 v[\vQuotient], -1, v[\vQuotient], vcc // final result
v_mul_lo_u32 v[\vRemainder], v[\vQuotient], v[\vDivisor] // 
_v_sub_co_u32 v[\vRemainder], vcc, v[\vDividend], v[\vRemainder] // final result
.endm



/******************************************/
/* Allocate Resources                     */
/******************************************/

Cijk_Alik_Bljk_I8II_BH_GB_MT64x128x64_MI32x32x8x1_SE_1LDSB0_APM1_ABV0_ACED0_AF0EM8_AF1EM1_AMAS0_ASE_ASGT_ASLT_ASEM1_AAC0_BL1_BS1_CLR0_DTVA0_DVO0_ETSP_EPS1_EMLL0_FL0_GLVWA16_GLVWB16_GRPM1_GRVW16_GSU1_GSUASB_GLS0_ISA90a_IU1_K1_KLA_LBSPPA128_LBSPPB128_LPA16_LPB16_LDL1_LRVW16_LWPMn1_LDW0_FMA_MIAV0_MO40_MMFGLC_NTA0_NTB0_NTC0_NTD0_NEPBS0_NLCA1_NLCB1_ONLL1_OPLV1_PKn1_PAP1_PGR1_PLR9_SIA3_SS0_SU32_SUM0_SUS128_SCIUI1_SPO0_SRVW4_SSO0_SVW4_SNLL0_TSGRA0_TSGRB0_TT1_64_TLDS1_UMLDSA1_UMLDSB1_USFGROn1_VAW1_VSn1_VW1_VWB1_VFLRP0_WSGRA1_WSGRB1_WG64_4_1_WGM2_preloaded: // Kernel start when preloading

/* Load Kernel Args */
_s_load_b512 s[24:39], s[sgprKernArgAddress:sgprKernArgAddress+1], 0x0 // 
_s_load_b512 s[40:55], s[sgprKernArgAddress:sgprKernArgAddress+1], 0x40 // 
_s_load_b256 s[56:63], s[sgprKernArgAddress:sgprKernArgAddress+1], 0x80 // 
_s_load_b64 s[64:65], s[sgprKernArgAddress:sgprKernArgAddress+1], 0xa0 // 
_s_load_b32 s66, s[sgprKernArgAddress:sgprKernArgAddress+1], 0xa8 // 
s_mov_b32 m0, 0x7600                               // LDS clamp at 30208 bytes
v_mov_b32 v[vgprSerial], v0                        // thread serial id

/******************************************/
/* Local Read Addresses                   */
/******************************************/


/* local read addresses: tile assignments a/b */

/*lr0I*/
v_and_b32 v1, 63, v[vgprSerial]                    // 0. thread id in wave: wtid = tid % wavelength(64)
v_and_b32 v0, 31, v1                               // 1. N offset: nIdx = wtid % MI_N(32)
v_lshlrev_b32 v0, 0x6, v0                          // 1. N offset: nOffset = nIdx * nStride(64)
                                                   // 2. block offset: bnIdx = bnIdx % num1DBlocks(1) is 0. do nothing
                                                   // 4. apply VectorWidth: bnOffset = bnOffset * vw(1) (multiplier is 1, do nothing)
v_lshrrev_b32 v1, 5, v1                            // 5. K offset: kIdx = wtid / (MIN(32) * MIBB(1))
v_lshlrev_b32 v1, 0x4, v1                          // 5. K offset: lrKOffset = kIdx * mStride(16)
_v_add_u32 v0, v1, v0                              // 6. offset in wave: lrOffset = bnOffset + lrKOffset
v_lshrrev_b32 v2, 6, v[vgprSerial]                 // 7. wave offset in N dimen: wtid = tid / dividedForWaveId(64)
v_and_b32 v1, 1, v2                                // 7. wave offset in M dimen: wtid0 = wtid / num1DWaves(2)
v_lshlrev_b32 v1, 0xb, v1                          // 7. wave offset in M dimen: wOffset = wtid0 * W0Stride(2048)
_v_add_u32 v0, v1, v0                              // 8. final local read offset: flrOffset = lrOffset + WOffset
/*lr1J*/
v_and_b32 v2, 63, v[vgprSerial]                    // 0. thread id in wave: wtid = tid % wavelength(64)
v_and_b32 v1, 31, v2                               // 1. N offset: nIdx = wtid % MI_N(32)
v_lshlrev_b32 v1, 0x6, v1                          // 1. N offset: nOffset = nIdx * nStride(64)
                                                   // 2. block offset: bnIdx = bnIdx % num1DBlocks(1) is 0. do nothing
                                                   // 4. apply VectorWidth: bnOffset = bnOffset * vw(1) (multiplier is 1, do nothing)
v_lshrrev_b32 v2, 5, v2                            // 5. K offset: kIdx = wtid / (MIN(32) * MIBB(1))
v_lshlrev_b32 v2, 0x4, v2                          // 5. K offset: lrKOffset = kIdx * mStride(16)
_v_add_u32 v1, v2, v1                              // 6. offset in wave: lrOffset = bnOffset + lrKOffset
v_lshrrev_b32 v3, 7, v[vgprSerial]                 // 7. wave offset in N dimen: wtid = tid / dividedForWaveId(128)
v_and_b32 v2, 1, v3                                // 7. wave offset in M dimen: wtid0 = wtid / num1DWaves(2)
v_lshlrev_b32 v2, 0xb, v2                          // 7. wave offset in M dimen: wOffset = wtid0 * W0Stride(2048)
_v_add_u32 v1, v2, v1                              // 8. final local read offset: flrOffset = lrOffset + WOffset


/* local read addresses: final offsets a */

v_lshlrev_b32 v[vgprLocalReadAddrA], 0x0, v0       // Final Offset: offset = (lro0)*bpe
v_lshrrev_b32 v0, 7, v[vgprLocalReadAddrA]         // Final Offset: padding 16 per block 128
v_lshlrev_b32 v0, 0x4, v0                          // Final Offset: padding 16 per block 128
_v_add_u32 v[vgprLocalReadAddrA], v0, v[vgprLocalReadAddrA] // Final Offset: add padding 16 per block 128


/* local read addresses: final offsets b */

v_lshlrev_b32 v[vgprLocalReadAddrB], 0x0, v1       // Final Offset: offset = (lro1)*bpe
v_lshrrev_b32 v0, 7, v[vgprLocalReadAddrB]         // Final Offset: padding 16 per block 128
v_lshlrev_b32 v0, 0x4, v0                          // Final Offset: padding 16 per block 128
_v_add_u32 v[vgprLocalReadAddrB], v0, v[vgprLocalReadAddrB] // Final Offset: add padding 16 per block 128


/* local read addresses: declare addresses a */

/* N/A */


/* local read addresses: declare addresses b */

_v_add_co_u32 v[vgprLocalReadAddrB+0], vcc, 0x1200, v[vgprLocalReadAddrB+0] //  += LdsOffsetB (lower)
s_waitcnt lgkmcnt(0)                               // wait for 172 bytes of kern args

s_mul_i32 s68, s[sgprWorkGroup2], 8                // offset of global buffer address
_s_load_b64 s[sgprAddressD:sgprAddressD+1], s[sgprAddressD:sgprAddressD+1], s68 // load global buffer D address
s_cmp_eq_u32 s[sgprBeta], 0                        // Beta == 0 ?
s_cbranch_scc1 label_skip_c_buffer_deref_WorkGroup2_10 // branch if beta == 0
s_mul_i32 s68, s[sgprWorkGroup2], 8                // offset of global buffer address
_s_load_b64 s[sgprAddressC:sgprAddressC+1], s[sgprAddressC:sgprAddressC+1], s68 // load global buffer C address
label_skip_c_buffer_deref_WorkGroup2_10: // 
s_mov_b32 s68, 0x1                                 // check summation size
s_mul_i32 s68, s[sgprSizesSum+0], s68              // check summation size
s_cmp_eq_u32 s68, 0x0                              // skip buffer deref is size of summation is 0
s_cbranch_scc1 label_skip_ab_buffer_deref_WorkGroup2_11 // skip buffer deref is size of summation is 0
s_cmp_eq_u32 s[sgprAlpha], 0                       // Alpha == 0 ?
s_cbranch_scc1 label_skip_ab_buffer_deref_WorkGroup2_11 // branch if alpha == 0
s_mul_i32 s68, s[sgprWorkGroup2], 8                // offset of global buffer address
_s_load_b64 s[sgprAddressA:sgprAddressA+1], s[sgprAddressA:sgprAddressA+1], s68 // load global buffer A address
_s_load_b64 s[sgprAddressB:sgprAddressB+1], s[sgprAddressB:sgprAddressB+1], s68 // load global buffer B address
label_skip_ab_buffer_deref_WorkGroup2_11: // 
s_waitcnt lgkmcnt(0)                               // wait global buffer address ready
s_lshl_b64 s[sgprOffsetD:sgprOffsetD+1], s[sgprOffsetD:sgprOffsetD+1], 0x2 // elements offset to bytes offset
s_add_u32 s[sgprAddressD+0], s[sgprAddressD+0], s[sgprOffsetD] // add offset to buffer address
s_addc_u32 s[sgprAddressD+1], s[sgprAddressD+1], s[sgprOffsetD+1] // add offset to buffer address
s_lshl_b64 s[sgprOffsetC:sgprOffsetC+1], s[sgprOffsetC:sgprOffsetC+1], 0x2 // elements offset to bytes offset
s_add_u32 s[sgprAddressC+0], s[sgprAddressC+0], s[sgprOffsetC] // add offset to buffer address
s_addc_u32 s[sgprAddressC+1], s[sgprAddressC+1], s[sgprOffsetC+1] // add offset to buffer address
s_lshl_b64 s[sgprOffsetA:sgprOffsetA+1], s[sgprOffsetA:sgprOffsetA+1], 0x0 // elements offset to bytes offset
s_add_u32 s[sgprAddressA+0], s[sgprAddressA+0], s[sgprOffsetA] // add offset to buffer address
s_addc_u32 s[sgprAddressA+1], s[sgprAddressA+1], s[sgprOffsetA+1] // add offset to buffer address
s_lshl_b64 s[sgprOffsetB:sgprOffsetB+1], s[sgprOffsetB:sgprOffsetB+1], 0x0 // elements offset to bytes offset
s_add_u32 s[sgprAddressB+0], s[sgprAddressB+0], s[sgprOffsetB] // add offset to buffer address
s_addc_u32 s[sgprAddressB+1], s[sgprAddressB+1], s[sgprOffsetB+1] // add offset to buffer address
s_sub_u32 s[sgprAddressA+0], s[sgprAddressA+0], 16 // pre-pad to make room for possible pointer shift
s_subb_u32 s[sgprAddressA+1], s[sgprAddressA+1], 0 // pre-pad to make room for possible pointer shift
s_sub_u32 s[sgprAddressB+0], s[sgprAddressB+0], 16 // pre-pad to make room for possible pointer shift
s_subb_u32 s[sgprAddressB+1], s[sgprAddressB+1], 0 // pre-pad to make room for possible pointer shift

.set OffsetD, UNDEF
.set OffsetC, UNDEF
.set OffsetA, UNDEF
.set OffsetB, UNDEF

/* Short circuit condition if Alpha == 0, then sumDims=0 */
s_cmp_eq_u32 s[sgprAlpha], 0                       // Alpha == 0 ?
s_cmov_b32 s[sgprSizesSum+0], 0x0                  // Set summation dim=0 if Alpha == 0
s_mov_b32 s[sgprSerialWorkGroupIter], s[sgprWorkGroup0] // init SerialWorkGroupIter
s_mov_b32 s[sgprPreLoopLWVmcntCase], 0x1           // init PreLoopLWVmcntCase to 1

s_mov_b32 s[sgprSrdD+0], s[sgprAddressD+0]         // init SRD base address (lower)
s_mov_b32 s[sgprSrdD+1], s[sgprAddressD+1]         // init SRD base address (upper) + other fields
s_mov_b32 s[sgprSrdD+2], BufferOOB                 // 
s_mov_b32 s[sgprSrdD+3], Srd127_96                 // Set bits 127_96 in post-loop SRD

s_mov_b32 s[sgprSrdC+0], s[sgprAddressC+0]         // init SRD base address (lower)
s_mov_b32 s[sgprSrdC+1], s[sgprAddressC+1]         // init SRD base address (upper) + other fields
s_mov_b32 s[sgprSrdC+2], BufferOOB                 // 
s_mov_b32 s[sgprSrdC+3], Srd127_96                 // Set bits 127_96 in post-loop SRD


	;; [unrolled: 1-line block ×3, first 2 shown]
/******************************************/
/* Begin setupNewTile, isPap=False           */
/******************************************/


/* global read addresses: work-group */

/* compute SerialWorkGroupIter / problemNumGroupTiles0 (aka numWorkGroups0) */
s_mul_hi_u32 s77, s[sgprSerialWorkGroupIter], s[sgprMagicNumberProblemNumGroupTiles0] //  s_magic mul, div alg 2
s_lshr_b32 s78, s[sgprMagicShiftProblemNumGroupTiles0], 31 //  tmpS = extract abit
s_mul_i32 s76, s[sgprSerialWorkGroupIter], s78     //  s_magic mul, div alg 2
s_add_u32 s76, s76, s77                            // 
s_and_b32 s78, s[sgprMagicShiftProblemNumGroupTiles0], 0x7fffffff //  tmpS = remove abit to final shift
s_lshr_b32 s76, s76, s78                           //  sMagicDiv Alg 2
s_mov_b32 s[sgprWorkGroup1], s76                   // wg1 = SerialWorkGroupIter / problemNumGroupTiles0
s_mul_i32 s[sgprWorkGroup0], s76, s[sgprNumWorkGroups0] // remainder part 1 : quotient * divisor
s_sub_u32 s[sgprWorkGroup0], s[sgprSerialWorkGroupIter], s[sgprWorkGroup0] // wg0 = SerialWorkGroupIter % problemNumGroupTiles0

/* graWorkGroup mapping */
s_mov_b32 s79, 0x40000001L                         // magic number for WGM==2
s_mul_hi_u32 s77, s[sgprWorkGroup1], s79           // s_magic mul
s_mul_i32 s76, s[sgprWorkGroup1], s79              // s_magic mul
s_lshr_b64 s[76:77], s[76:77], 31                  // sMagicDiv
s_mul_i32 s77, s76, 2                              // quotient * non-magic divisor
s_sub_u32 s77, s[sgprWorkGroup1], s77              // WorkGroup1=remainder
s_mul_i32 s77, s77, s[sgprNumWorkGroups0]          // (wg1 % WGM)*nwg0
s_add_u32 s77, s77, s[sgprWorkGroup0]              // wgSerial = wg0 + (wg1 % WGM)*nwg1
s_cmp_ge_u32 s76, s[sgprNumFullBlocks]             // blockId >= numFullBlocks ?
s_cmov_b32 s79, s[sgprMagicNumberWgmRemainder1]    // 
s_cselect_b32 s78, s[sgprWgmRemainder1], 2         // 
s_mul_hi_u32 s3, s77, s79                          // s_magic mul
s_mul_i32 s2, s77, s79                             // s_magic mul
s_lshr_b64 s[2:3], s[2:3], 31                      // sMagicDiv
s_mul_i32 s[sgprWorkGroup1], s[sgprWorkGroup0], s78 // quotient * non-magic divisor
s_sub_u32 s[sgprWorkGroup1], s77, s[sgprWorkGroup1] // WorkGroup1=remainder
s_mul_i32 s76, s76, 2                              // blockId * WGM
s_add_u32 s[sgprWorkGroup1], s[sgprWorkGroup1], s76 // wg1 += blockId * WGM


/* global read addresses: tile offset assignment a */

/* LVCA = 4 */
/* v0 = (local)groA-tile = serial/LVCA (note (wgA*MTA) will be added to SRD) */
/* v1 = groA-unroll = serial%LVCA */
v_and_b32 v2, 63, v[vgprSerial]                    // v2 = v[vgprSerial] % 64
v_lshrrev_b32 v0, 2, v2                            // v0 = v2 / 4
v_and_b32 v1, 3, v2                                // v1 = v2 % 4
v_readfirstlane_b32 s75, v[vgprSerial]             // WaveIdxWavefrontWidth
s_lshr_b32 s75, s75, 0x6                           // WaveId
s_mul_i32 s75, s75, 16                             // Global Read Wave: each wave loads continuous lsp(16)*nrp(1) columns
_v_add_u32 v0, s75, v0                             // Global Read Wave: add back to column index
/* gro-unroll *= glvw */
v_lshlrev_b32 v1, 0x4, v1                          // v1 = v1 * 16


/* global read addresses: tile offset assignment b */

/* LVCB = 4 */
/* v2 = (local)groB-tile = serial/LVCB (note (wgB*MTB) will be added to SRD) */
/* v3 = groB-unroll = serial%LVCB */
v_and_b32 v4, 63, v[vgprSerial]                    // v4 = v[vgprSerial] % 64
v_lshrrev_b32 v2, 2, v4                            // v2 = v4 / 4
v_and_b32 v3, 3, v4                                // v3 = v4 % 4
v_readfirstlane_b32 s75, v[vgprSerial]             // WaveIdxWavefrontWidth
s_lshr_b32 s75, s75, 0x6                           // WaveId
s_mul_i32 s75, s75, 32                             // Global Read Wave: each wave loads continuous lsp(16)*nrp(2) columns
_v_add_u32 v2, s75, v2                             // Global Read Wave: add back to column index
/* gro-unroll *= glvw */
v_lshlrev_b32 v3, 0x4, v3                          // v3 = v3 * 16


/* global read addresses: unroll assignment a */

/* v1 */


/* global read addresses: unroll assignment b */

/* v3 */


/* global read addresses: other free assignments */

/* s[sgprWorkGroup2] */


/* global read addresses: tile offsets a */


	;; [unrolled: 1-line block ×3, first 2 shown]
/* global read addresses: tile offsets b */


	;; [unrolled: 1-line block ×3, first 2 shown]
/* global read addresses: unroll offsets a */


	;; [unrolled: 1-line block ×3, first 2 shown]
/* global read addresses: unroll offsets b */


	;; [unrolled: 1-line block ×3, first 2 shown]
/* global read addresses: final offsets a */

GLOBAL_OFFSET_A vgprGlobalReadOffsetA+0,  1,  0, 4 // gROA_0_0_0_0


/* global read addresses: final offsets b */

GLOBAL_OFFSET_B vgprGlobalReadOffsetB+0,  3,  2, 4 // gROB_0_0_0_0
s_mul_i32 s[sgprScalarGlobalReadOffsetB+0], s[sgprStrideB1J], 16 // compute offset diff (scaled tileDim)
s_lshl_b32 s[sgprScalarGlobalReadOffsetB+0], s[sgprScalarGlobalReadOffsetB+0], 0x0 // scalar offset *= bytes/element


/* global read addresses: addresses a */

/* max read offset = size[n] * stride[n-1] */
s_mul_hi_u32 s79, s[sgprWorkGroup0], 64            // WorkGroup[01] * MT
s_mul_i32 s78, s[sgprWorkGroup0], 64               // WorkGroup[01] * MT
s_mul_hi_u32 s79, s78, s[sgprStrideA0I]            // tlu=0, scaled tile-offset by stride
s_mul_i32 s78, s78, s[sgprStrideA0I]               // tlu=0, scaled tile-offset by stride
s_sub_u32 s[sgprShadowLimitA+0], s[sgprTensor2dSizeA], s78 // sub tileStart
s_subb_u32 s[sgprShadowLimitA+1], s[sgprTensor2dSizeA+1], s79 // sub tileStart
s_lshl_b64 s[sgprShadowLimitA:sgprShadowLimitA+1], s[sgprShadowLimitA:sgprShadowLimitA+1], 0x0 // Set limit to use bytes
s_add_u32 s[sgprShadowLimitA+0], s[sgprShadowLimitA+0], 16 // extend limit for pre-pad
s_addc_u32 s[sgprShadowLimitA+1], s[sgprShadowLimitA+1], 0 // extend limit for pre-pad
s_cmp_eq_u32 s[sgprShadowLimitA+1], 0              // are we within 2^32?
s_cselect_b32 s[sgprSrdA+2], s[sgprShadowLimitA+0], BufferLimitA // Move shadow to real if we are within 2^32
                                                   // tileStart *= BPE (multiplier is 1, do nothing)
s_add_u32 s[sgprSrdA+0], s[sgprAddressA+0], s78    // SRD base = Address+ tileStart0
s_addc_u32 s[sgprSrdA+1], s[sgprAddressA+1], s79   // SRD base = Address+ tileStart1
s_mov_b32 s[sgprSrdA+3], Srd127_96                 // Set bits 127_96 in SRD


/* global read addresses: addresses b */

/* max read offset = size[n] * stride[n-1] */
s_mul_hi_u32 s79, s[sgprWorkGroup1], 128           // WorkGroup[01] * MT
s_mul_i32 s78, s[sgprWorkGroup1], 128              // WorkGroup[01] * MT
s_mul_hi_u32 s79, s78, s[sgprStrideB1J]            // tlu=0, scaled tile-offset by stride
s_mul_i32 s78, s78, s[sgprStrideB1J]               // tlu=0, scaled tile-offset by stride
s_sub_u32 s[sgprShadowLimitB+0], s[sgprTensor2dSizeB], s78 // sub tileStart
s_subb_u32 s[sgprShadowLimitB+1], s[sgprTensor2dSizeB+1], s79 // sub tileStart
s_lshl_b64 s[sgprShadowLimitB:sgprShadowLimitB+1], s[sgprShadowLimitB:sgprShadowLimitB+1], 0x0 // Set limit to use bytes
s_add_u32 s[sgprShadowLimitB+0], s[sgprShadowLimitB+0], 16 // extend limit for pre-pad
s_addc_u32 s[sgprShadowLimitB+1], s[sgprShadowLimitB+1], 0 // extend limit for pre-pad
s_cmp_eq_u32 s[sgprShadowLimitB+1], 0              // are we within 2^32?
s_cselect_b32 s[sgprSrdB+2], s[sgprShadowLimitB+0], BufferLimitB // Move shadow to real if we are within 2^32
                                                   // tileStart *= BPE (multiplier is 1, do nothing)
s_add_u32 s[sgprSrdB+0], s[sgprAddressB+0], s78    // SRD base = Address+ tileStart0
s_addc_u32 s[sgprSrdB+1], s[sgprAddressB+1], s79   // SRD base = Address+ tileStart1
s_mov_b32 s[sgprSrdB+3], Srd127_96                 // Set bits 127_96 in SRD


/* global read addresses: increments a */

s_mov_b32 s[sgprGlobalReadIncsA+0], DepthU*BpeA    // incrA (unrollIdx)


/* global read addresses: increments b */

s_mov_b32 s[sgprGlobalReadIncsB+0], DepthU*BpeB    // incrB (unrollIdx)


/******************************************/
/* Local Write Addresses                  */
/******************************************/

/* lwaTileAssignmentA = v0 */

/* lwaTileAssignmentB = v2 */

/* lwaUnrollAssignmentA = v1 */

/* lwaUnrollAssignmentB = v3 */


/* local write addresses: first offset a */

v_mul_u32_u24 v[vgprLocalWriteAddrA], 0x40, v0     // lwAL**(DepthU_Compute + PAD)
_v_add_lshl_u32 v[vgprLocalWriteAddrA], v1, v[vgprLocalWriteAddrA], 0x0 // lwFOA = (lwAA + lwAL*(DepthU+PAD))*bpe
v_lshrrev_b32 v1, 7, v[vgprLocalWriteAddrA]        // padding 16 per block 128
v_lshlrev_b32 v1, 0x4, v1                          // padding 16 per block 128
_v_add_u32 v[vgprLocalWriteAddrA], v1, v[vgprLocalWriteAddrA] // add padding 16 per block 128


/* local write addresses: first offset b */

v_mul_u32_u24 v[vgprLocalWriteAddrB], 0x40, v2     // lwBL**(DepthU_Compute + PAD)
_v_add_lshl_u32 v[vgprLocalWriteAddrB], v3, v[vgprLocalWriteAddrB], 0x0 // lwFOB = (lwBB + lwBL*(DepthU+PAD))*bpe
v_lshrrev_b32 v3, 7, v[vgprLocalWriteAddrB]        // padding 16 per block 128
v_lshlrev_b32 v3, 0x4, v3                          // padding 16 per block 128
_v_add_u32 v[vgprLocalWriteAddrB], v3, v[vgprLocalWriteAddrB] // add padding 16 per block 128
_v_add_co_u32 v[vgprLocalWriteAddrB], vcc, 0x1200, v[vgprLocalWriteAddrB] // lwFOB = lwB1J + lwBL*MT1J + LDS_OFFSET_B=4608*1


	;; [unrolled: 1-line block ×7, first 2 shown]
/* declare loop num iterations */


s_lshr_b32 s[sgprLoopCounterL], s[sgprSizesSum+0], 6 // s[sgprLoopCounterL] = s[sgprSizesSum+0] / 64
s_mov_b32 s[sgprOrigLoopCounter], s[sgprLoopCounterL] // copy loop counter

s_and_b32 s[sgprStaggerUIter], s[sgprOrigStaggerUIter], s[sgprWorkGroup0] // Compute actual stagger start for this tile
s_lshl_b32 s[sgprStaggerUIter], s[sgprStaggerUIter], 1 // shift by StaggerUStride


/* SRDs += (StaggerUIter) * GlobalReadIncsA+0 */
s_mul_hi_u32 s77, s[sgprStaggerUIter], s[sgprGlobalReadIncsA+0] //  stagger byte offset
s_mul_i32 s76, s[sgprStaggerUIter], s[sgprGlobalReadIncsA+0] //  stagger byte offset
s_mul_hi_u32 s[sgprWrapUA+1], s[sgprLoopCounterL], s[sgprGlobalReadIncsA+0] // Number of bytes accessed by the unroll loop
s_mul_i32 s[sgprWrapUA+0], s[sgprLoopCounterL], s[sgprGlobalReadIncsA+0] // Number of bytes accessed by the unroll loop
s_sub_u32 s[sgprWrapUA+0], s[sgprGlobalReadIncsA+0], s[sgprWrapUA+0] // remove one iteration
s_subb_u32 s[sgprWrapUA+1], 0, s[sgprWrapUA+1]     // remove one iteration
s_add_u32 s[sgprSrdA+0], s[sgprSrdA+0], s76        // gra SRD += inc(lower)
s_addc_u32  s[sgprSrdA+1], s[sgprSrdA+1], s77      // gra SRD += inc(upper)
s_sub_u32 s[sgprShadowLimitA+0], s[sgprShadowLimitA+0], s76 // limit -= inc)
s_subb_u32 s[sgprShadowLimitA+1], s[sgprShadowLimitA+1], s77 // limit -= inc)
s_cmp_eq_u32 s[sgprShadowLimitA+1], 0              // are we within 2^32?
s_cselect_b32 s[sgprSrdA+2], s[sgprShadowLimitA+0], BufferLimitA // Move shadow to real if we are within 2^32


/* SRDs += (StaggerUIter) * GlobalReadIncsB+0 */
s_mul_hi_u32 s77, s[sgprStaggerUIter], s[sgprGlobalReadIncsB+0] //  stagger byte offset
s_mul_i32 s76, s[sgprStaggerUIter], s[sgprGlobalReadIncsB+0] //  stagger byte offset
s_mul_hi_u32 s[sgprWrapUB+1], s[sgprLoopCounterL], s[sgprGlobalReadIncsB+0] // Number of bytes accessed by the unroll loop
s_mul_i32 s[sgprWrapUB+0], s[sgprLoopCounterL], s[sgprGlobalReadIncsB+0] // Number of bytes accessed by the unroll loop
s_sub_u32 s[sgprWrapUB+0], s[sgprGlobalReadIncsB+0], s[sgprWrapUB+0] // remove one iteration
s_subb_u32 s[sgprWrapUB+1], 0, s[sgprWrapUB+1]     // remove one iteration
s_add_u32 s[sgprSrdB+0], s[sgprSrdB+0], s76        // gra SRD += inc(lower)
s_addc_u32  s[sgprSrdB+1], s[sgprSrdB+1], s77      // gra SRD += inc(upper)
s_sub_u32 s[sgprShadowLimitB+0], s[sgprShadowLimitB+0], s76 // limit -= inc)
s_subb_u32 s[sgprShadowLimitB+1], s[sgprShadowLimitB+1], s77 // limit -= inc)
s_cmp_eq_u32 s[sgprShadowLimitB+1], 0              // are we within 2^32?
s_cselect_b32 s[sgprSrdB+2], s[sgprShadowLimitB+0], BufferLimitB // Move shadow to real if we are within 2^32
s_add_u32 s[sgprStaggerUIter], s[sgprStaggerUIter], 2 // Subtract (PGR-1); StaggerUIter now contains target iteration to wrap

/* local read addresses: init pointers a */


/* localReadInitPointers */

/* local read addresses: init pointers b */


/* localReadInitPointers */


/* prefetch: global -> local */

s_cmp_eq_u32 s[sgprLoopCounterL], 0                // at last iteration?
s_cbranch_scc1 ShadowInitStart_12                  // skip to ShadowInitStart iter b/c numIter==0


_buffer_load_b128 v[vgprG2LA+0:vgprG2LA+0+3], v[vgprGlobalReadOffsetA+0], s[sgprSrdA:sgprSrdA+3], 0, offen offset:0 // G -> Reg 0_0_0_0


_buffer_load_b128 v[vgprG2LB+0:vgprG2LB+0+3], v[vgprGlobalReadOffsetB+0], s[sgprSrdB:sgprSrdB+3], 0, offen offset:0 // G -> Reg 0_0_0_0
_buffer_load_b128 v[vgprG2LB+4:vgprG2LB+4+3], v[vgprGlobalReadOffsetB+0], s[sgprSrdB:sgprSrdB+3], s[sgprScalarGlobalReadOffsetB+0], offen offset:0 // G -> Reg 0_0_1_0


/* global read inc A loopL */
s_add_u32 s78, s[sgprLoopCounterL], 1              // remove pf(1)
s_cmp_eq_u32 s[sgprStaggerUIter], s78              // Is this wrapIter? (pf)
s_cselect_b32 s76, s[sgprWrapUA+0], s[sgprGlobalReadIncsA+0] // incLower <- ?
s_cselect_b32 s77, s[sgprWrapUA+1], 0              // incUpper <- ?
s_add_u32 s[sgprSrdA+0], s[sgprSrdA+0], s76        // gra SRD += inc(lower)
s_addc_u32  s[sgprSrdA+1], s[sgprSrdA+1], s77      // gra SRD += inc(upper)
s_sub_u32 s[sgprShadowLimitA+0], s[sgprShadowLimitA+0], s76 // limit -= inc)
s_subb_u32 s[sgprShadowLimitA+1], s[sgprShadowLimitA+1], s77 // limit -= inc)
s_cmp_eq_u32 s[sgprShadowLimitA+1], 0              // are we within 2^32?
s_cselect_b32 s[sgprSrdA+2], s[sgprShadowLimitA+0], BufferLimitA // Move shadow to real if we are within 2^32

/* global read inc B loopL */
s_add_u32 s78, s[sgprLoopCounterL], 1              // remove pf(1)
s_cmp_eq_u32 s[sgprStaggerUIter], s78              // Is this wrapIter? (pf)
s_cselect_b32 s76, s[sgprWrapUB+0], s[sgprGlobalReadIncsB+0] // incLower <- ?
s_cselect_b32 s77, s[sgprWrapUB+1], 0              // incUpper <- ?
s_add_u32 s[sgprSrdB+0], s[sgprSrdB+0], s76        // gra SRD += inc(lower)
s_addc_u32  s[sgprSrdB+1], s[sgprSrdB+1], s77      // gra SRD += inc(upper)
s_sub_u32 s[sgprShadowLimitB+0], s[sgprShadowLimitB+0], s76 // limit -= inc)
s_subb_u32 s[sgprShadowLimitB+1], s[sgprShadowLimitB+1], s77 // limit -= inc)
s_cmp_eq_u32 s[sgprShadowLimitB+1], 0              // are we within 2^32?
s_cselect_b32 s[sgprSrdB+2], s[sgprShadowLimitB+0], BufferLimitB // Move shadow to real if we are within 2^32


/******************************************/
/* End setupNewTile, isPap=False             */
/******************************************/


/******************************************/
/* Persistent Loop Start                  */
/******************************************/
label_0013: // PersistentLoopStart 

ShadowInitStart_12: // 


s_mul_i32 s78, MT1, s[sgprWorkGroup1]              // <- wg1*MT1
s_mul_hi_u32 s77, s78, s[sgprStrideC1J]            // CScale s78 by Stride
s_mul_i32 s76, s78, s[sgprStrideC1J]               // CScale s78 by Stride
s_lshl_b64 s[76:77], s[76:77], 2                   // scale by bpe
s_add_u32 s[sgprSrdC+0], s[sgprAddressC+0], s76    // add lo to SRD
s_addc_u32 s[sgprSrdC+1], s[sgprAddressC+1], s77   // add hi to SRD
s_mul_hi_u32 s77, s78, s[sgprStrideD1J]            // Scale s78 by Stride
s_mul_i32 s76, s78, s[sgprStrideD1J]               // Scale s78 by Stride
s_lshl_b64 s[76:77], s[76:77], 2                   // scale by bpe
s_add_u32 s[sgprSrdD+0], s[sgprAddressD+0], s76    // add lo to SRD
s_addc_u32 s[sgprSrdD+1], s[sgprAddressD+1], s77   // add hi to SRD


	;; [unrolled: 1-line block ×3, first 2 shown]
/* initC: remove C-tile 0-0 from pool */

/* initC: remove AB-tile 0-24 from pool */
v_accvgpr_write acc0, 0x0                          // initC
v_accvgpr_write acc1, 0x0                          // initC
v_accvgpr_write acc2, 0x0                          // initC
v_accvgpr_write acc3, 0x0                          // initC
v_accvgpr_write acc4, 0x0                          // initC
v_accvgpr_write acc5, 0x0                          // initC
v_accvgpr_write acc6, 0x0                          // initC
v_accvgpr_write acc7, 0x0                          // initC
v_accvgpr_write acc8, 0x0                          // initC
v_accvgpr_write acc9, 0x0                          // initC
v_accvgpr_write acc10, 0x0                         // initC
v_accvgpr_write acc11, 0x0                         // initC
v_accvgpr_write acc12, 0x0                         // initC
v_accvgpr_write acc13, 0x0                         // initC
v_accvgpr_write acc14, 0x0                         // initC
v_accvgpr_write acc15, 0x0                         // initC
v_accvgpr_write acc16, 0x0                         // initC
v_accvgpr_write acc17, 0x0                         // initC
v_accvgpr_write acc18, 0x0                         // initC
v_accvgpr_write acc19, 0x0                         // initC
v_accvgpr_write acc20, 0x0                         // initC
v_accvgpr_write acc21, 0x0                         // initC
v_accvgpr_write acc22, 0x0                         // initC
v_accvgpr_write acc23, 0x0                         // initC
v_accvgpr_write acc24, 0x0                         // initC
v_accvgpr_write acc25, 0x0                         // initC
v_accvgpr_write acc26, 0x0                         // initC
v_accvgpr_write acc27, 0x0                         // initC
v_accvgpr_write acc28, 0x0                         // initC
v_accvgpr_write acc29, 0x0                         // initC
v_accvgpr_write acc30, 0x0                         // initC
v_accvgpr_write acc31, 0x0                         // initC
/* move to next serial WG */
s_add_u32 s[sgprSerialWorkGroupIter], s[sgprSerialWorkGroupIter], s[sgprGridNumWorkGroups0] // Move Serial forward by numworkgroups - will map to new wg0/wg1 later
/* save PrevWorkGroup for stores here */
s_mov_b32 s[sgprPrevWorkGroup0], s[sgprWorkGroup0] // save for store code
s_mov_b32 s[sgprPrevWorkGroup1], s[sgprWorkGroup1] // save for store code

s_cmp_eq_u32 s[sgprLoopCounterL], 0                // at last iteration?

/* after InitC, skip to end of prefetch last iter if numIter==0 */
s_cbranch_scc0 label_NoBranch_14                   // Only branch on scc1
s_getpc_B64 s[76:77]                               // addr of next instr
s_add_i32 s78, PrefetchGlobalLastIterEnd_5, 0x4    // target branch offset
s_add_u32 s76, s76, s78                            // add target branch offset
s_addc_u32 s77, s77, 0                             // add high and carry
s_setpc_b64 s[76:77]                               // branch to PrefetchGlobalLastIterEnd_5
label_NoBranch_14:


s_barrier                                         // for the second or later PKLoop, need to ensure the prev DS_READ for SR or MFMA are finished before LW

s_cmp_eq_u32 s[sgprPreLoopLWVmcntCase], 0x1        // Case 1: First PK Loop?
s_cbranch_scc1 Basic_GL_Label_15                   // jump to Case 1, can skip the s_barrier
s_cmp_eq_u32 s[sgprPreLoopLWVmcntCase], 0x2        // Case 2: Prev PK-Loop is Opt-NLL?
s_cbranch_scc1 OptNLL_LW_Label_16                  // jump to Case 2
s_cmp_eq_u32 s[sgprPreLoopLWVmcntCase], 0x3        // Case 3: Prev PK-Loop is Ord-NLL with edge?
s_cbranch_scc1 OrdNLL_E1_LW_Label_17               // jump to Case 3
s_branch OrdNLL_B1_LW_Label_18                     // jump to Case 4

Basic_GL_Label_15:
/* global-load-cnt = 3+0 */

/* local write a */
s_waitcnt vmcnt(2)                                 // min(maxVmcnt, (0+3-1)) 
_ds_store_b128 v[vgprLocalWriteAddrA], v[vgprG2LA+0:vgprG2LA+0+3] offset:0 // lwoA_0_0_0_0 = (0*LSCA)*(MT0I+PAD) + (0*LSPA) = 0

/* local write b */
s_waitcnt vmcnt(1)                                 // min(maxVmcnt, (0+3-2)) 
_ds_store_b128 v[vgprLocalWriteAddrB], v[vgprG2LB+0:vgprG2LB+0+3] offset:0 // lwoB_0_0_0_0 = (0*LSCB)*(MT1J+PAD) + (0*LSPB) = 0
s_waitcnt vmcnt(0)                                 // min(maxVmcnt, (0+3-3)) 
_ds_store_b128 v[vgprLocalWriteAddrB], v[vgprG2LB+4:vgprG2LB+4+3] offset:1152 // lwoB_0_0_1_0 = (0*LSCB)*(MT1J+PAD) + (1*LSPB) = 1152
s_branch PreLoopLWEnd_20                           // finish case, jump to end of LW

OptNLL_LW_Label_16:
/* prev-global-store-cnt = 8, global-load-cnt = 3+0 */

/* local write a */
s_waitcnt vmcnt(10)                                // min(maxVmcnt, (8+0+3-1)) 
_ds_store_b128 v[vgprLocalWriteAddrA], v[vgprG2LA+0:vgprG2LA+0+3] offset:0 // lwoA_0_0_0_0 = (0*LSCA)*(MT0I+PAD) + (0*LSPA) = 0

/* local write b */
s_waitcnt vmcnt(9)                                 // min(maxVmcnt, (8+0+3-2)) 
_ds_store_b128 v[vgprLocalWriteAddrB], v[vgprG2LB+0:vgprG2LB+0+3] offset:0 // lwoB_0_0_0_0 = (0*LSCB)*(MT1J+PAD) + (0*LSPB) = 0
s_waitcnt vmcnt(8)                                 // min(maxVmcnt, (8+0+3-3)) 
_ds_store_b128 v[vgprLocalWriteAddrB], v[vgprG2LB+4:vgprG2LB+4+3] offset:1152 // lwoB_0_0_1_0 = (0*LSCB)*(MT1J+PAD) + (1*LSPB) = 1152
s_branch PreLoopLWEnd_20                           // finish case, jump to end of LW

OrdNLL_E1_LW_Label_17:
/* prev-global-store-cnt = 8, global-load-cnt = 3+0 */

/* local write a */
s_waitcnt vmcnt(10)                                // min(maxVmcnt, (8+0+3-1)) 
_ds_store_b128 v[vgprLocalWriteAddrA], v[vgprG2LA+0:vgprG2LA+0+3] offset:0 // lwoA_0_0_0_0 = (0*LSCA)*(MT0I+PAD) + (0*LSPA) = 0

/* local write b */
s_waitcnt vmcnt(9)                                 // min(maxVmcnt, (8+0+3-2)) 
_ds_store_b128 v[vgprLocalWriteAddrB], v[vgprG2LB+0:vgprG2LB+0+3] offset:0 // lwoB_0_0_0_0 = (0*LSCB)*(MT1J+PAD) + (0*LSPB) = 0
s_waitcnt vmcnt(8)                                 // min(maxVmcnt, (8+0+3-3)) 
_ds_store_b128 v[vgprLocalWriteAddrB], v[vgprG2LB+4:vgprG2LB+4+3] offset:1152 // lwoB_0_0_1_0 = (0*LSCB)*(MT1J+PAD) + (1*LSPB) = 1152
s_branch PreLoopLWEnd_20                           // finish case, jump to end of LW

OrdNLL_B1_LW_Label_18:
/* local write a */
_ds_store_b128 v[vgprLocalWriteAddrA], v[vgprG2LA+0:vgprG2LA+0+3] offset:0 // lwoA_0_0_0_0 = (0*LSCA)*(MT0I+PAD) + (0*LSPA) = 0

/* local write b */
_ds_store_b128 v[vgprLocalWriteAddrB], v[vgprG2LB+0:vgprG2LB+0+3] offset:0 // lwoB_0_0_0_0 = (0*LSCB)*(MT1J+PAD) + (0*LSPB) = 0
_ds_store_b128 v[vgprLocalWriteAddrB], v[vgprG2LB+4:vgprG2LB+4+3] offset:1152 // lwoB_0_0_1_0 = (0*LSCB)*(MT1J+PAD) + (1*LSPB) = 1152

PreLoopLWEnd_20:

/* local write swap a */


/* (EPS=1) local write swap internal offset -> 16384 */


/* local write swap b */


/* (EPS=1) local write swap internal offset -> 16384 */


	;; [unrolled: 1-line block ×3, first 2 shown]
s_waitcnt lgkmcnt(0)                               // lgkmcnt=0 vmcnt=-10prefetch wait for local write

// Skip force waitcnt0
s_barrier //


/* local read prefetch a */

_ds_load_b128 v[vgprValuA_X0_I0+0:vgprValuA_X0_I0+0+3], v[vgprLocalReadAddrA] offset:0 // L -> Reg lro=0 swapByteOffset=0 ti=64 vIdx=0 rIdx=0 oIdx=0 buffer=0 iui=0


/* local read prefetch b */

_ds_load_b128 v[vgprValuB_X0_I0+0:vgprValuB_X0_I0+0+3], v[vgprLocalReadAddrB] offset:0 // L -> Reg lro=0 swapByteOffset=0 ti=64 vIdx=0 rIdx=0 oIdx=0 buffer=0 iui=0
_ds_load_b128 v[vgprValuB_X0_I0+4:vgprValuB_X0_I0+4+3], v[vgprLocalReadAddrB] offset:4608 // L -> Reg lro=0 swapByteOffset=0 ti=64 vIdx=1 rIdx=0 oIdx=0 buffer=0 iui=0


/* local read inc a */

/* N/A, lro->32 */
/* self.localReadDoCntA 1 self.localReadDoCntB 1 */


/* local read inc b */

/* N/A, lro->32 */
/* self.localReadDoCntA 1 self.localReadDoCntB 1 */


	;; [unrolled: 1-line block ×3, first 2 shown]
/******************************************/
/* Unrolled Loop(s) - Begin               */
/******************************************/

openLoopL_21:
s_cmp_le_u32 s[sgprLoopCounterL], 0x1              // LoopCounterL < EndCounter
s_cbranch_scc1 LoopEndL_2                          // do not enter LoopL
LoopBeginL_1:


/******************************************/
/* Unrolled Loop 1/2 - Begin              */
/******************************************/

label_0022: // LoopCopy1 


/* Begin Each Unroll: Check VGPR.checkin for INT8 LW */


	;; [unrolled: 1-line block ×3, first 2 shown]
/* iter 0 */

/*  grEndMfmaIndex:2, lwStartMfmaIndex:10, lwEndMfmaIndex:12  */
/*  numMfmaForLR:1, barrierMfmaIndex:14 */
/*  mfmaIndex:0  */
_buffer_load_b128 v[vgprG2LA+0:vgprG2LA+0+3], v[vgprGlobalReadOffsetA+0], s[sgprSrdA:sgprSrdA+3], 0, offen offset:0 // G -> Reg 0_0_0_0
s_waitcnt lgkmcnt(0)                               // lgkmcnt=0 vmcnt=-1wait for prior local read local write old=0, new=0 newLW=0 newLR=0
v_mfma_i32_32x32x8i8 a[0+0:15+0], v[vgprValuA_X0_I0+0+0+0], v[vgprValuB_X0_I0+0+0+0], a[0:15]
/*  mfmaIndex:1  */
_ds_load_b128 v[vgprValuA_X4_I0+0:vgprValuA_X4_I0+0+3], v[vgprLocalReadAddrA] offset:32 // L -> Reg lro=32 swapByteOffset=0 ti=64 vIdx=0 rIdx=0 oIdx=0 buffer=4 iui=0
_ds_load_b128 v[vgprValuB_X4_I0+0:vgprValuB_X4_I0+0+3], v[vgprLocalReadAddrB] offset:32 // L -> Reg lro=32 swapByteOffset=0 ti=64 vIdx=0 rIdx=0 oIdx=0 buffer=4 iui=0
_ds_load_b128 v[vgprValuB_X4_I0+4:vgprValuB_X4_I0+4+3], v[vgprLocalReadAddrB] offset:4640 // L -> Reg lro=32 swapByteOffset=0 ti=64 vIdx=1 rIdx=0 oIdx=0 buffer=4 iui=0
/* localReadsVacancy: latencyLeft 1 */
_buffer_load_b128 v[vgprG2LB+0:vgprG2LB+0+3], v[vgprGlobalReadOffsetB+0], s[sgprSrdB:sgprSrdB+3], 0, offen offset:0 // G -> Reg 0_0_0_0
v_mfma_i32_32x32x8i8 a[16+0:31+0], v[vgprValuA_X0_I0+0+0+0], v[vgprValuB_X0_I0+4+0+0], a[16:31]
/* numPrefetchIter=0 */
/* dataAtIterA=-1 numReadsIterA=1 skipReadsIterA=1 readsPerIterA=1 */
/* dataAtIterB=-1 numReadsIterB=1 skipReadsIterB=1 readsPerIterB=2 */


/* iter 1 */

/*  grEndMfmaIndex:2, lwStartMfmaIndex:10, lwEndMfmaIndex:12  */
/*  numMfmaForLR:1, barrierMfmaIndex:14 */
/*  mfmaIndex:2  */
/* localReadsVacancy: latencyLeft 13 */
_buffer_load_b128 v[vgprG2LB+4:vgprG2LB+4+3], v[vgprGlobalReadOffsetB+0], s[sgprSrdB:sgprSrdB+3], s[sgprScalarGlobalReadOffsetB+0], offen offset:0 // G -> Reg 0_0_1_0
s_waitcnt lgkmcnt(3)                               // lgkmcnt=0 vmcnt=-1wait for prior local read local write old=0, new=3 newLW=0 newLR=3
v_mfma_i32_32x32x8i8 a[0+0:15+0], v[vgprValuA_X0_I0+0+1+0], v[vgprValuB_X0_I0+0+1+0], a[0:15]
/*  mfmaIndex:3  */
/* localReadsVacancy: latencyLeft 13 */

/* global read inc A loopL */
s_cmp_eq_u32 s[sgprLoopCounterL], s[sgprStaggerUIter] // Is this the wrapIter?
s_cselect_b32 s76, s[sgprWrapUA+0], s[sgprGlobalReadIncsA+0] // incLower <- ?
s_cselect_b32 s77, s[sgprWrapUA+1], 0              // incUpper <- ?
s_add_u32 s[sgprSrdA+0], s[sgprSrdA+0], s76        // gra SRD += inc(lower)
s_addc_u32  s[sgprSrdA+1], s[sgprSrdA+1], s77      // gra SRD += inc(upper)
s_sub_u32 s[sgprShadowLimitA+0], s[sgprShadowLimitA+0], s76 // limit -= inc)
s_subb_u32 s[sgprShadowLimitA+1], s[sgprShadowLimitA+1], s77 // limit -= inc)
v_mfma_i32_32x32x8i8 a[16+0:31+0], v[vgprValuA_X0_I0+0+1+0], v[vgprValuB_X0_I0+4+1+0], a[16:31]
/* numPrefetchIter=0 */
/* dataAtIterA=-1 numReadsIterA=1 skipReadsIterA=1 readsPerIterA=1 */
/* dataAtIterB=-1 numReadsIterB=1 skipReadsIterB=1 readsPerIterB=2 */


/* iter 2 */

/*  grEndMfmaIndex:2, lwStartMfmaIndex:10, lwEndMfmaIndex:12  */
/*  numMfmaForLR:1, barrierMfmaIndex:14 */
/*  mfmaIndex:4  */
/* localReadsVacancy: latencyLeft 13 */
s_cmp_eq_u32 s[sgprShadowLimitA+1], 0              // are we within 2^32?
s_cselect_b32 s[sgprSrdA+2], s[sgprShadowLimitA+0], BufferLimitA // Move shadow to real if we are within 2^32

/* global read inc B loopL */
s_cmp_eq_u32 s[sgprLoopCounterL], s[sgprStaggerUIter] // Is this the wrapIter?
s_cselect_b32 s76, s[sgprWrapUB+0], s[sgprGlobalReadIncsB+0] // incLower <- ?
s_cselect_b32 s77, s[sgprWrapUB+1], 0              // incUpper <- ?
s_add_u32 s[sgprSrdB+0], s[sgprSrdB+0], s76        // gra SRD += inc(lower)
s_addc_u32  s[sgprSrdB+1], s[sgprSrdB+1], s77      // gra SRD += inc(upper)
s_waitcnt lgkmcnt(3)                               // lgkmcnt=0 vmcnt=-1wait for prior local read local write old=0, new=3 newLW=0 newLR=3
v_mfma_i32_32x32x8i8 a[0+0:15+0], v[vgprValuA_X0_I0+0+2+0], v[vgprValuB_X0_I0+0+2+0], a[0:15]
/*  mfmaIndex:5  */
/* localReadsVacancy: latencyLeft 13 */
s_sub_u32 s[sgprShadowLimitB+0], s[sgprShadowLimitB+0], s76 // limit -= inc)
s_subb_u32 s[sgprShadowLimitB+1], s[sgprShadowLimitB+1], s77 // limit -= inc)
s_cmp_eq_u32 s[sgprShadowLimitB+1], 0              // are we within 2^32?
s_cselect_b32 s[sgprSrdB+2], s[sgprShadowLimitB+0], BufferLimitB // Move shadow to real if we are within 2^32
v_mfma_i32_32x32x8i8 a[16+0:31+0], v[vgprValuA_X0_I0+0+2+0], v[vgprValuB_X0_I0+4+2+0], a[16:31]
/* numPrefetchIter=0 */
/* dataAtIterA=-1 numReadsIterA=1 skipReadsIterA=1 readsPerIterA=1 */
/* dataAtIterB=-1 numReadsIterB=1 skipReadsIterB=1 readsPerIterB=2 */


/* iter 3 */

/*  grEndMfmaIndex:2, lwStartMfmaIndex:10, lwEndMfmaIndex:12  */
/*  numMfmaForLR:1, barrierMfmaIndex:14 */
/*  mfmaIndex:6  */
/* localReadsVacancy: latencyLeft 13 */
s_waitcnt lgkmcnt(3)                               // lgkmcnt=0 vmcnt=-1wait for prior local read local write old=0, new=3 newLW=0 newLR=3
v_mfma_i32_32x32x8i8 a[0+0:15+0], v[vgprValuA_X0_I0+0+3+0], v[vgprValuB_X0_I0+0+3+0], a[0:15]
/*  mfmaIndex:7  */
/* localReadsVacancy: latencyLeft 13 */
v_mfma_i32_32x32x8i8 a[16+0:31+0], v[vgprValuA_X0_I0+0+3+0], v[vgprValuB_X0_I0+4+3+0], a[16:31]
/* numPrefetchIter=0 */
/* dataAtIterA=-1 numReadsIterA=1 skipReadsIterA=1 readsPerIterA=1 */
/* dataAtIterB=-1 numReadsIterB=1 skipReadsIterB=1 readsPerIterB=2 */


/* iter 4 */

/*  grEndMfmaIndex:2, lwStartMfmaIndex:10, lwEndMfmaIndex:12  */
/*  numMfmaForLR:1, barrierMfmaIndex:14 */
/*  mfmaIndex:8  */
/* localReadsVacancy: latencyLeft 13 */
s_waitcnt lgkmcnt(0)                               // lgkmcnt=0 vmcnt=-1wait for prior local read local write old=0, new=0 newLW=0 newLR=0
v_mfma_i32_32x32x8i8 a[0+0:15+0], v[vgprValuA_X4_I0+0+0+0], v[vgprValuB_X4_I0+0+0+0], a[0:15]
/*  mfmaIndex:9  */
/* localReadsVacancy: latencyLeft 13 */
v_mfma_i32_32x32x8i8 a[16+0:31+0], v[vgprValuA_X4_I0+0+0+0], v[vgprValuB_X4_I0+4+0+0], a[16:31]
/* numPrefetchIter=0 */
/* dataAtIterA=0 numReadsIterA=1 skipReadsIterA=0 readsPerIterA=1 */
/* dataAtIterB=0 numReadsIterB=1 skipReadsIterB=0 readsPerIterB=2 */


/* iter 5 */

/*  grEndMfmaIndex:2, lwStartMfmaIndex:10, lwEndMfmaIndex:12  */
/*  numMfmaForLR:1, barrierMfmaIndex:14 */
/*  mfmaIndex:10  */
/* localReadsVacancy: latencyLeft 3 */
/* sched write - iter 5 writesPerItem=1 */
s_waitcnt vmcnt(0)                                 // lgkmcnt=-1 vmcnt=0wait for global read before writing to local
_ds_store_b128 v[vgprLocalWriteAddrA], v[vgprG2LA+0:vgprG2LA+0+3] offset:16384 // lwoA_0_0_0_0 = (0*LSCA)*(MT0I+PAD) + (0*LSPA) = 16384
s_waitcnt lgkmcnt(1)                               // lgkmcnt=0 vmcnt=-1wait for prior local read local write old=0, new=1 newLW=1 newLR=0
v_mfma_i32_32x32x8i8 a[0+0:15+0], v[vgprValuA_X4_I0+0+1+0], v[vgprValuB_X4_I0+0+1+0], a[0:15]
/*  mfmaIndex:11  */
/* localReadsVacancy: latencyLeft 3 */
/* sched write - iter 5 writesPerItem=1 */
s_waitcnt vmcnt(0)                                 // lgkmcnt=-1 vmcnt=0wait for global read before writing to local
_ds_store_b128 v[vgprLocalWriteAddrB], v[vgprG2LB+0:vgprG2LB+0+3] offset:16384 // lwoB_0_0_0_0 = (0*LSCB)*(MT1J+PAD) + (0*LSPB) = 16384
v_mfma_i32_32x32x8i8 a[16+0:31+0], v[vgprValuA_X4_I0+0+1+0], v[vgprValuB_X4_I0+4+1+0], a[16:31]
/* numPrefetchIter=0 */
/* dataAtIterA=0 numReadsIterA=1 skipReadsIterA=0 readsPerIterA=1 */
/* dataAtIterB=0 numReadsIterB=1 skipReadsIterB=0 readsPerIterB=2 */


/* iter 6 (reset local read pointers iteration)  (swap and reset local write pointers iteration)  (swap local read pointers iteration)  */

/*  grEndMfmaIndex:2, lwStartMfmaIndex:10, lwEndMfmaIndex:12  */
/*  numMfmaForLR:1, barrierMfmaIndex:14 */
/*  mfmaIndex:12  */
/* localReadsVacancy: latencyLeft 3 */
/* sched write - iter 6 writesPerItem=1 */
s_waitcnt vmcnt(0)                                 // lgkmcnt=-1 vmcnt=0wait for global read before writing to local
_ds_store_b128 v[vgprLocalWriteAddrB], v[vgprG2LB+4:vgprG2LB+4+3] offset:17536 // lwoB_0_0_1_0 = (0*LSCB)*(MT1J+PAD) + (1*LSPB) = 17536

/* local write swap offsets a */

/* (EPS=1) local write swap internal offset -> 0 */

/* local write swap offsets b */

/* (EPS=1) local write swap internal offset -> 0 */
s_waitcnt lgkmcnt(3)                               // lgkmcnt=0 vmcnt=-1wait for prior local read local write old=0, new=3 newLW=3 newLR=0
v_mfma_i32_32x32x8i8 a[0+0:15+0], v[vgprValuA_X4_I0+0+2+0], v[vgprValuB_X4_I0+0+2+0], a[0:15]
/*  mfmaIndex:13  */
/* localReadsVacancy: latencyLeft 13 */

/* local read swap offsets a */

/* local read swap internal offset -> 16384 */

/* local read swap offsets b */

/* local read swap internal offset -> 16384 */

/* local read init pointers a */

/* localReadInitPointers */

/* local read init pointers b */

/* localReadInitPointers */
v_mfma_i32_32x32x8i8 a[16+0:31+0], v[vgprValuA_X4_I0+0+2+0], v[vgprValuB_X4_I0+4+2+0], a[16:31]
/* numPrefetchIter=0 */
/* dataAtIterA=0 numReadsIterA=1 skipReadsIterA=0 readsPerIterA=1 */
/* dataAtIterB=0 numReadsIterB=1 skipReadsIterB=0 readsPerIterB=2 */


/* iter 7 */

/*  grEndMfmaIndex:2, lwStartMfmaIndex:10, lwEndMfmaIndex:12  */
/*  numMfmaForLR:1, barrierMfmaIndex:14 */
/*  mfmaIndex:14  */
s_waitcnt lgkmcnt(0)                               // lgkmcnt=0 vmcnt=-13wait for local write
// Skip force waitcnt0
s_barrier //
s_waitcnt lgkmcnt(3)                               // lgkmcnt=0 vmcnt=-1wait for prior local read local write old=0, new=3 newLW=3 newLR=0
v_mfma_i32_32x32x8i8 a[0+0:15+0], v[vgprValuA_X4_I0+0+3+0], v[vgprValuB_X4_I0+0+3+0], a[0:15]
/*  mfmaIndex:15  */
_ds_load_b128 v[vgprValuA_X0_I0+0:vgprValuA_X0_I0+0+3], v[vgprLocalReadAddrA] offset:16384 // L -> Reg lro=0 swapByteOffset=16384 ti=64 vIdx=0 rIdx=0 oIdx=0 buffer=0 iui=0
_ds_load_b128 v[vgprValuB_X0_I0+0:vgprValuB_X0_I0+0+3], v[vgprLocalReadAddrB] offset:16384 // L -> Reg lro=0 swapByteOffset=16384 ti=64 vIdx=0 rIdx=0 oIdx=0 buffer=0 iui=0
_ds_load_b128 v[vgprValuB_X0_I0+4:vgprValuB_X0_I0+4+3], v[vgprLocalReadAddrB] offset:20992 // L -> Reg lro=0 swapByteOffset=16384 ti=64 vIdx=1 rIdx=0 oIdx=0 buffer=0 iui=0
v_mfma_i32_32x32x8i8 a[16+0:31+0], v[vgprValuA_X4_I0+0+3+0], v[vgprValuB_X4_I0+4+3+0], a[16:31]
/* numPrefetchIter=1 */
/* dataAtIterA=0 numReadsIterA=1 skipReadsIterA=1 readsPerIterA=1 */
/* dataAtIterB=0 numReadsIterB=1 skipReadsIterB=1 readsPerIterB=2 */


/******************************************/
/* Unrolled Loop - End 1/2                */
/******************************************/


/* closeLoop loopL finalLoop=0 tailLoop=0 */
s_sub_u32 s[sgprLoopCounterL], s[sgprLoopCounterL], 1 // dec counterL
s_cmp_eq_i32 s[sgprLoopCounterL], 0x1              // counterL==1
s_cbranch_scc1 LoopEndL_oddexit_3                  // exit LoopL


/******************************************/
/* Unrolled Loop 2/2 - Begin              */
/******************************************/

label_0023: // LoopCopy2 


/* Begin Each Unroll: Check VGPR.checkin for INT8 LW */


	;; [unrolled: 1-line block ×3, first 2 shown]
/* iter 0 */

/*  grEndMfmaIndex:2, lwStartMfmaIndex:10, lwEndMfmaIndex:12  */
/*  numMfmaForLR:1, barrierMfmaIndex:14 */
/*  mfmaIndex:0  */
_buffer_load_b128 v[vgprG2LA+0:vgprG2LA+0+3], v[vgprGlobalReadOffsetA+0], s[sgprSrdA:sgprSrdA+3], 0, offen offset:0 // G -> Reg 0_0_0_0
s_waitcnt lgkmcnt(0)                               // lgkmcnt=0 vmcnt=-1wait for prior local read local write old=0, new=0 newLW=0 newLR=0
v_mfma_i32_32x32x8i8 a[0+0:15+0], v[vgprValuA_X0_I0+0+0+0], v[vgprValuB_X0_I0+0+0+0], a[0:15]
/*  mfmaIndex:1  */
_ds_load_b128 v[vgprValuA_X4_I0+0:vgprValuA_X4_I0+0+3], v[vgprLocalReadAddrA] offset:16416 // L -> Reg lro=32 swapByteOffset=16384 ti=64 vIdx=0 rIdx=0 oIdx=0 buffer=4 iui=0
_ds_load_b128 v[vgprValuB_X4_I0+0:vgprValuB_X4_I0+0+3], v[vgprLocalReadAddrB] offset:16416 // L -> Reg lro=32 swapByteOffset=16384 ti=64 vIdx=0 rIdx=0 oIdx=0 buffer=4 iui=0
_ds_load_b128 v[vgprValuB_X4_I0+4:vgprValuB_X4_I0+4+3], v[vgprLocalReadAddrB] offset:21024 // L -> Reg lro=32 swapByteOffset=16384 ti=64 vIdx=1 rIdx=0 oIdx=0 buffer=4 iui=0
/* localReadsVacancy: latencyLeft 1 */
_buffer_load_b128 v[vgprG2LB+0:vgprG2LB+0+3], v[vgprGlobalReadOffsetB+0], s[sgprSrdB:sgprSrdB+3], 0, offen offset:0 // G -> Reg 0_0_0_0
v_mfma_i32_32x32x8i8 a[16+0:31+0], v[vgprValuA_X0_I0+0+0+0], v[vgprValuB_X0_I0+4+0+0], a[16:31]
/* numPrefetchIter=0 */
/* dataAtIterA=-1 numReadsIterA=1 skipReadsIterA=1 readsPerIterA=1 */
/* dataAtIterB=-1 numReadsIterB=1 skipReadsIterB=1 readsPerIterB=2 */


/* iter 1 */

/*  grEndMfmaIndex:2, lwStartMfmaIndex:10, lwEndMfmaIndex:12  */
/*  numMfmaForLR:1, barrierMfmaIndex:14 */
/*  mfmaIndex:2  */
/* localReadsVacancy: latencyLeft 13 */
_buffer_load_b128 v[vgprG2LB+4:vgprG2LB+4+3], v[vgprGlobalReadOffsetB+0], s[sgprSrdB:sgprSrdB+3], s[sgprScalarGlobalReadOffsetB+0], offen offset:0 // G -> Reg 0_0_1_0
s_waitcnt lgkmcnt(3)                               // lgkmcnt=0 vmcnt=-1wait for prior local read local write old=0, new=3 newLW=0 newLR=3
v_mfma_i32_32x32x8i8 a[0+0:15+0], v[vgprValuA_X0_I0+0+1+0], v[vgprValuB_X0_I0+0+1+0], a[0:15]
/*  mfmaIndex:3  */
/* localReadsVacancy: latencyLeft 13 */

/* global read inc A loopL */
s_cmp_eq_u32 s[sgprLoopCounterL], s[sgprStaggerUIter] // Is this the wrapIter?
s_cselect_b32 s76, s[sgprWrapUA+0], s[sgprGlobalReadIncsA+0] // incLower <- ?
s_cselect_b32 s77, s[sgprWrapUA+1], 0              // incUpper <- ?
s_add_u32 s[sgprSrdA+0], s[sgprSrdA+0], s76        // gra SRD += inc(lower)
s_addc_u32  s[sgprSrdA+1], s[sgprSrdA+1], s77      // gra SRD += inc(upper)
s_sub_u32 s[sgprShadowLimitA+0], s[sgprShadowLimitA+0], s76 // limit -= inc)
s_subb_u32 s[sgprShadowLimitA+1], s[sgprShadowLimitA+1], s77 // limit -= inc)
v_mfma_i32_32x32x8i8 a[16+0:31+0], v[vgprValuA_X0_I0+0+1+0], v[vgprValuB_X0_I0+4+1+0], a[16:31]
/* numPrefetchIter=0 */
/* dataAtIterA=-1 numReadsIterA=1 skipReadsIterA=1 readsPerIterA=1 */
/* dataAtIterB=-1 numReadsIterB=1 skipReadsIterB=1 readsPerIterB=2 */


/* iter 2 */

/*  grEndMfmaIndex:2, lwStartMfmaIndex:10, lwEndMfmaIndex:12  */
/*  numMfmaForLR:1, barrierMfmaIndex:14 */
/*  mfmaIndex:4  */
/* localReadsVacancy: latencyLeft 13 */
s_cmp_eq_u32 s[sgprShadowLimitA+1], 0              // are we within 2^32?
s_cselect_b32 s[sgprSrdA+2], s[sgprShadowLimitA+0], BufferLimitA // Move shadow to real if we are within 2^32

/* global read inc B loopL */
s_cmp_eq_u32 s[sgprLoopCounterL], s[sgprStaggerUIter] // Is this the wrapIter?
s_cselect_b32 s76, s[sgprWrapUB+0], s[sgprGlobalReadIncsB+0] // incLower <- ?
s_cselect_b32 s77, s[sgprWrapUB+1], 0              // incUpper <- ?
s_add_u32 s[sgprSrdB+0], s[sgprSrdB+0], s76        // gra SRD += inc(lower)
s_addc_u32  s[sgprSrdB+1], s[sgprSrdB+1], s77      // gra SRD += inc(upper)
s_waitcnt lgkmcnt(3)                               // lgkmcnt=0 vmcnt=-1wait for prior local read local write old=0, new=3 newLW=0 newLR=3
v_mfma_i32_32x32x8i8 a[0+0:15+0], v[vgprValuA_X0_I0+0+2+0], v[vgprValuB_X0_I0+0+2+0], a[0:15]
/*  mfmaIndex:5  */
/* localReadsVacancy: latencyLeft 13 */
s_sub_u32 s[sgprShadowLimitB+0], s[sgprShadowLimitB+0], s76 // limit -= inc)
s_subb_u32 s[sgprShadowLimitB+1], s[sgprShadowLimitB+1], s77 // limit -= inc)
s_cmp_eq_u32 s[sgprShadowLimitB+1], 0              // are we within 2^32?
s_cselect_b32 s[sgprSrdB+2], s[sgprShadowLimitB+0], BufferLimitB // Move shadow to real if we are within 2^32
v_mfma_i32_32x32x8i8 a[16+0:31+0], v[vgprValuA_X0_I0+0+2+0], v[vgprValuB_X0_I0+4+2+0], a[16:31]
/* numPrefetchIter=0 */
/* dataAtIterA=-1 numReadsIterA=1 skipReadsIterA=1 readsPerIterA=1 */
/* dataAtIterB=-1 numReadsIterB=1 skipReadsIterB=1 readsPerIterB=2 */


/* iter 3 */

/*  grEndMfmaIndex:2, lwStartMfmaIndex:10, lwEndMfmaIndex:12  */
/*  numMfmaForLR:1, barrierMfmaIndex:14 */
/*  mfmaIndex:6  */
/* localReadsVacancy: latencyLeft 13 */
s_waitcnt lgkmcnt(3)                               // lgkmcnt=0 vmcnt=-1wait for prior local read local write old=0, new=3 newLW=0 newLR=3
v_mfma_i32_32x32x8i8 a[0+0:15+0], v[vgprValuA_X0_I0+0+3+0], v[vgprValuB_X0_I0+0+3+0], a[0:15]
/*  mfmaIndex:7  */
/* localReadsVacancy: latencyLeft 13 */
v_mfma_i32_32x32x8i8 a[16+0:31+0], v[vgprValuA_X0_I0+0+3+0], v[vgprValuB_X0_I0+4+3+0], a[16:31]
/* numPrefetchIter=0 */
/* dataAtIterA=-1 numReadsIterA=1 skipReadsIterA=1 readsPerIterA=1 */
/* dataAtIterB=-1 numReadsIterB=1 skipReadsIterB=1 readsPerIterB=2 */


/* iter 4 */

/*  grEndMfmaIndex:2, lwStartMfmaIndex:10, lwEndMfmaIndex:12  */
/*  numMfmaForLR:1, barrierMfmaIndex:14 */
/*  mfmaIndex:8  */
/* localReadsVacancy: latencyLeft 13 */
s_waitcnt lgkmcnt(0)                               // lgkmcnt=0 vmcnt=-1wait for prior local read local write old=0, new=0 newLW=0 newLR=0
v_mfma_i32_32x32x8i8 a[0+0:15+0], v[vgprValuA_X4_I0+0+0+0], v[vgprValuB_X4_I0+0+0+0], a[0:15]
/*  mfmaIndex:9  */
/* localReadsVacancy: latencyLeft 13 */
v_mfma_i32_32x32x8i8 a[16+0:31+0], v[vgprValuA_X4_I0+0+0+0], v[vgprValuB_X4_I0+4+0+0], a[16:31]
/* numPrefetchIter=0 */
/* dataAtIterA=0 numReadsIterA=1 skipReadsIterA=0 readsPerIterA=1 */
/* dataAtIterB=0 numReadsIterB=1 skipReadsIterB=0 readsPerIterB=2 */


/* iter 5 */

/*  grEndMfmaIndex:2, lwStartMfmaIndex:10, lwEndMfmaIndex:12  */
/*  numMfmaForLR:1, barrierMfmaIndex:14 */
/*  mfmaIndex:10  */
/* localReadsVacancy: latencyLeft 3 */
/* sched write - iter 5 writesPerItem=1 */
s_waitcnt vmcnt(0)                                 // lgkmcnt=-1 vmcnt=0wait for global read before writing to local
_ds_store_b128 v[vgprLocalWriteAddrA], v[vgprG2LA+0:vgprG2LA+0+3] offset:0 // lwoA_0_0_0_0 = (0*LSCA)*(MT0I+PAD) + (0*LSPA) = 0
s_waitcnt lgkmcnt(1)                               // lgkmcnt=0 vmcnt=-1wait for prior local read local write old=0, new=1 newLW=1 newLR=0
v_mfma_i32_32x32x8i8 a[0+0:15+0], v[vgprValuA_X4_I0+0+1+0], v[vgprValuB_X4_I0+0+1+0], a[0:15]
/*  mfmaIndex:11  */
/* localReadsVacancy: latencyLeft 3 */
/* sched write - iter 5 writesPerItem=1 */
s_waitcnt vmcnt(0)                                 // lgkmcnt=-1 vmcnt=0wait for global read before writing to local
_ds_store_b128 v[vgprLocalWriteAddrB], v[vgprG2LB+0:vgprG2LB+0+3] offset:0 // lwoB_0_0_0_0 = (0*LSCB)*(MT1J+PAD) + (0*LSPB) = 0
v_mfma_i32_32x32x8i8 a[16+0:31+0], v[vgprValuA_X4_I0+0+1+0], v[vgprValuB_X4_I0+4+1+0], a[16:31]
/* numPrefetchIter=0 */
/* dataAtIterA=0 numReadsIterA=1 skipReadsIterA=0 readsPerIterA=1 */
/* dataAtIterB=0 numReadsIterB=1 skipReadsIterB=0 readsPerIterB=2 */


/* iter 6 (reset local read pointers iteration)  (swap and reset local write pointers iteration)  (swap local read pointers iteration)  */

/*  grEndMfmaIndex:2, lwStartMfmaIndex:10, lwEndMfmaIndex:12  */
/*  numMfmaForLR:1, barrierMfmaIndex:14 */
/*  mfmaIndex:12  */
/* localReadsVacancy: latencyLeft 3 */
/* sched write - iter 6 writesPerItem=1 */
s_waitcnt vmcnt(0)                                 // lgkmcnt=-1 vmcnt=0wait for global read before writing to local
_ds_store_b128 v[vgprLocalWriteAddrB], v[vgprG2LB+4:vgprG2LB+4+3] offset:1152 // lwoB_0_0_1_0 = (0*LSCB)*(MT1J+PAD) + (1*LSPB) = 1152

/* local write swap offsets a */

/* (EPS=1) local write swap internal offset -> 16384 */

/* local write swap offsets b */

/* (EPS=1) local write swap internal offset -> 16384 */
s_waitcnt lgkmcnt(3)                               // lgkmcnt=0 vmcnt=-1wait for prior local read local write old=0, new=3 newLW=3 newLR=0
v_mfma_i32_32x32x8i8 a[0+0:15+0], v[vgprValuA_X4_I0+0+2+0], v[vgprValuB_X4_I0+0+2+0], a[0:15]
/*  mfmaIndex:13  */
/* localReadsVacancy: latencyLeft 13 */

/* local read swap offsets a */

/* local read swap internal offset -> 0 */

/* local read swap offsets b */

/* local read swap internal offset -> 0 */

/* local read init pointers a */

/* localReadInitPointers */

/* local read init pointers b */

/* localReadInitPointers */
v_mfma_i32_32x32x8i8 a[16+0:31+0], v[vgprValuA_X4_I0+0+2+0], v[vgprValuB_X4_I0+4+2+0], a[16:31]
/* numPrefetchIter=0 */
/* dataAtIterA=0 numReadsIterA=1 skipReadsIterA=0 readsPerIterA=1 */
/* dataAtIterB=0 numReadsIterB=1 skipReadsIterB=0 readsPerIterB=2 */


/* iter 7 */

/*  grEndMfmaIndex:2, lwStartMfmaIndex:10, lwEndMfmaIndex:12  */
/*  numMfmaForLR:1, barrierMfmaIndex:14 */
/*  mfmaIndex:14  */
s_waitcnt lgkmcnt(0)                               // lgkmcnt=0 vmcnt=-13wait for local write
// Skip force waitcnt0
s_barrier //
s_waitcnt lgkmcnt(3)                               // lgkmcnt=0 vmcnt=-1wait for prior local read local write old=0, new=3 newLW=3 newLR=0
v_mfma_i32_32x32x8i8 a[0+0:15+0], v[vgprValuA_X4_I0+0+3+0], v[vgprValuB_X4_I0+0+3+0], a[0:15]
/*  mfmaIndex:15  */
_ds_load_b128 v[vgprValuA_X0_I0+0:vgprValuA_X0_I0+0+3], v[vgprLocalReadAddrA] offset:0 // L -> Reg lro=0 swapByteOffset=0 ti=64 vIdx=0 rIdx=0 oIdx=0 buffer=0 iui=0
_ds_load_b128 v[vgprValuB_X0_I0+0:vgprValuB_X0_I0+0+3], v[vgprLocalReadAddrB] offset:0 // L -> Reg lro=0 swapByteOffset=0 ti=64 vIdx=0 rIdx=0 oIdx=0 buffer=0 iui=0
_ds_load_b128 v[vgprValuB_X0_I0+4:vgprValuB_X0_I0+4+3], v[vgprLocalReadAddrB] offset:4608 // L -> Reg lro=0 swapByteOffset=0 ti=64 vIdx=1 rIdx=0 oIdx=0 buffer=0 iui=0
v_mfma_i32_32x32x8i8 a[16+0:31+0], v[vgprValuA_X4_I0+0+3+0], v[vgprValuB_X4_I0+4+3+0], a[16:31]
/* numPrefetchIter=1 */
/* dataAtIterA=0 numReadsIterA=1 skipReadsIterA=1 readsPerIterA=1 */
/* dataAtIterB=0 numReadsIterB=1 skipReadsIterB=1 readsPerIterB=2 */


/******************************************/
/* Unrolled Loop - End 2/2 (final)        */
/******************************************/


/* closeLoop loopL finalLoop=1 tailLoop=0 */
s_sub_u32 s[sgprLoopCounterL], s[sgprLoopCounterL], 1 // dec counterL
s_cmp_eq_i32 s[sgprLoopCounterL], 0x1              // counterL==1
s_cbranch_scc0 LoopBeginL_1                        // restart LoopL
LoopEndL_evenexit_4: // unroll loop eveniter exit
s_branch LoopEndL_2                                // exit unroll loopL (and skip second exit code)
LoopEndL_oddexit_3: // unroll loop odditer exit

/* Select high bank of LDS */
v_xor_b32 v[vgprLocalReadAddrA], 0x4000, v[vgprLocalReadAddrA] // swap Red Blk
v_xor_b32 v[vgprLocalReadAddrB], 0x4000, v[vgprLocalReadAddrB] // swap Red Blk
LoopEndL_2:


/* Before NLL: Check VGPR.checkin for INT8 LW */


/******************************************/
/* Opt. NoLoadLoop With PAP - Begin                                      */
/******************************************/

s_cmpk_eq_u32 s[sgprBeta], 0x0                     // Beta == 0
s_cbranch_scc0 OptNLL_End_24                       // Branch if Beta is not zero

s_cmp_eq_u32 s[sgprAlpha], 1                       // Alpha == 1.0 ?
s_cbranch_scc0 OptNLL_End_24                       // branch if alpha != 1

s_and_b32 s76, 63, s[sgprSizeI]                    // s76 = s[sgprSizeI] % 64
s_add_u32 s77, -0x1, s[sgprNumWorkGroups0]         // 
s_cmp_ge_u32 s[sgprPrevWorkGroup0], s77            // wg0 >= nwg0-1 ?
s_cselect_b32 s76, s76, 0                          // set rMT0
s_cmpk_gt_u32 s76, 0x0                             // rMT0 > 0
s_cbranch_scc1 OptNLL_End_24                       // jump if edges required
s_and_b32 s76, 127, s[sgprSizeJ]                   // s76 = s[sgprSizeJ] % 128
s_add_u32 s77, -0x1, s[sgprNumWorkGroups1]         // 
s_cmp_ge_u32 s[sgprPrevWorkGroup1], s77            // wg1 >= nwg1-1
s_cselect_b32 s76, s76, 0                          // set rMT1
s_cmpk_gt_u32 s76, 0x0                             // rMT1 > 0
s_cbranch_scc1 OptNLL_End_24                       // jump if edges required

s_and_b32 s77, 63, s[sgprSizesSum+0]               // s77 = s[sgprSizesSum+0] % 64
s_cmp_eq_u32 s77, 0x0                              // numIterL == 0
s_cbranch_scc0 OptNLL_End_24                       // skip if tail loop required

/******************************************/
/* Begin setupNewTile, isPap=True           */
/******************************************/


/* global read addresses: work-group */

/* compute SerialWorkGroupIter / problemNumGroupTiles0 (aka numWorkGroups0) */
s_mul_hi_u32 s77, s[sgprSerialWorkGroupIter], s[sgprMagicNumberProblemNumGroupTiles0] //  s_magic mul, div alg 2
s_lshr_b32 s78, s[sgprMagicShiftProblemNumGroupTiles0], 31 //  tmpS = extract abit
s_mul_i32 s76, s[sgprSerialWorkGroupIter], s78     //  s_magic mul, div alg 2
s_add_u32 s76, s76, s77                            // 
s_and_b32 s78, s[sgprMagicShiftProblemNumGroupTiles0], 0x7fffffff //  tmpS = remove abit to final shift
s_lshr_b32 s76, s76, s78                           //  sMagicDiv Alg 2
s_mov_b32 s[sgprWorkGroup1], s76                   // wg1 = SerialWorkGroupIter / problemNumGroupTiles0
s_mul_i32 s[sgprWorkGroup0], s76, s[sgprNumWorkGroups0] // remainder part 1 : quotient * divisor
s_sub_u32 s[sgprWorkGroup0], s[sgprSerialWorkGroupIter], s[sgprWorkGroup0] // wg0 = SerialWorkGroupIter % problemNumGroupTiles0

/* graWorkGroup mapping */
s_mov_b32 s79, 0x40000001L                         // magic number for WGM==2
s_mul_hi_u32 s77, s[sgprWorkGroup1], s79           // s_magic mul
s_mul_i32 s76, s[sgprWorkGroup1], s79              // s_magic mul
s_lshr_b64 s[76:77], s[76:77], 31                  // sMagicDiv
s_mul_i32 s77, s76, 2                              // quotient * non-magic divisor
s_sub_u32 s77, s[sgprWorkGroup1], s77              // WorkGroup1=remainder
s_mul_i32 s77, s77, s[sgprNumWorkGroups0]          // (wg1 % WGM)*nwg0
s_add_u32 s77, s77, s[sgprWorkGroup0]              // wgSerial = wg0 + (wg1 % WGM)*nwg1
s_cmp_ge_u32 s76, s[sgprNumFullBlocks]             // blockId >= numFullBlocks ?
s_cmov_b32 s79, s[sgprMagicNumberWgmRemainder1]    // 
s_cselect_b32 s78, s[sgprWgmRemainder1], 2         // 
s_mul_hi_u32 s3, s77, s79                          // s_magic mul
s_mul_i32 s2, s77, s79                             // s_magic mul
s_lshr_b64 s[2:3], s[2:3], 31                      // sMagicDiv
s_mul_i32 s[sgprWorkGroup1], s[sgprWorkGroup0], s78 // quotient * non-magic divisor
s_sub_u32 s[sgprWorkGroup1], s77, s[sgprWorkGroup1] // WorkGroup1=remainder
s_mul_i32 s76, s76, 2                              // blockId * WGM
s_add_u32 s[sgprWorkGroup1], s[sgprWorkGroup1], s76 // wg1 += blockId * WGM


/* global read addresses: tile offset assignment a */

/* LVCA = 4 */
/* v43 = (local)groA-tile = serial/LVCA (note (wgA*MTA) will be added to SRD) */
/* v44 = groA-unroll = serial%LVCA */
v_and_b32 v45, 63, v[vgprSerial]                   // v45 = v[vgprSerial] % 64
v_lshrrev_b32 v43, 2, v45                          // v43 = v45 / 4
v_and_b32 v44, 3, v45                              // v44 = v45 % 4
v_readfirstlane_b32 s75, v[vgprSerial]             // WaveIdxWavefrontWidth
s_lshr_b32 s75, s75, 0x6                           // WaveId
s_mul_i32 s75, s75, 16                             // Global Read Wave: each wave loads continuous lsp(16)*nrp(1) columns
_v_add_u32 v43, s75, v43                           // Global Read Wave: add back to column index
/* gro-unroll *= glvw */
v_lshlrev_b32 v44, 0x4, v44                        // v44 = v44 * 16


/* global read addresses: tile offset assignment b */

/* LVCB = 4 */
/* v45 = (local)groB-tile = serial/LVCB (note (wgB*MTB) will be added to SRD) */
/* v46 = groB-unroll = serial%LVCB */
v_and_b32 v47, 63, v[vgprSerial]                   // v47 = v[vgprSerial] % 64
v_lshrrev_b32 v45, 2, v47                          // v45 = v47 / 4
v_and_b32 v46, 3, v47                              // v46 = v47 % 4
v_readfirstlane_b32 s75, v[vgprSerial]             // WaveIdxWavefrontWidth
s_lshr_b32 s75, s75, 0x6                           // WaveId
s_mul_i32 s75, s75, 32                             // Global Read Wave: each wave loads continuous lsp(16)*nrp(2) columns
_v_add_u32 v45, s75, v45                           // Global Read Wave: add back to column index
/* gro-unroll *= glvw */
v_lshlrev_b32 v46, 0x4, v46                        // v46 = v46 * 16


/* global read addresses: unroll assignment a */


	;; [unrolled: 1-line block ×3, first 2 shown]
/* global read addresses: unroll assignment b */


	;; [unrolled: 1-line block ×3, first 2 shown]
/* global read addresses: other free assignments */

/* s[sgprWorkGroup2] */


/* global read addresses: tile offsets a */


	;; [unrolled: 1-line block ×3, first 2 shown]
/* global read addresses: tile offsets b */



/* global read addresses: unroll offsets a */


	;; [unrolled: 1-line block ×3, first 2 shown]
/* global read addresses: unroll offsets b */


	;; [unrolled: 1-line block ×3, first 2 shown]
/* global read addresses: final offsets a */


	;; [unrolled: 1-line block ×3, first 2 shown]
/* global read addresses: final offsets b */


	;; [unrolled: 1-line block ×3, first 2 shown]
/* global read addresses: addresses a */

/* max read offset = size[n] * stride[n-1] */
s_mul_hi_u32 s79, s[sgprWorkGroup0], 64            // WorkGroup[01] * MT
s_mul_i32 s78, s[sgprWorkGroup0], 64               // WorkGroup[01] * MT
s_mul_hi_u32 s79, s78, s[sgprStrideA0I]            // tlu=0, scaled tile-offset by stride
s_mul_i32 s78, s78, s[sgprStrideA0I]               // tlu=0, scaled tile-offset by stride
s_sub_u32 s[sgprShadowLimitA+0], s[sgprTensor2dSizeA], s78 // sub tileStart
s_subb_u32 s[sgprShadowLimitA+1], s[sgprTensor2dSizeA+1], s79 // sub tileStart
s_lshl_b64 s[sgprShadowLimitA:sgprShadowLimitA+1], s[sgprShadowLimitA:sgprShadowLimitA+1], 0x0 // Set limit to use bytes
s_add_u32 s[sgprShadowLimitA+0], s[sgprShadowLimitA+0], 16 // extend limit for pre-pad
s_addc_u32 s[sgprShadowLimitA+1], s[sgprShadowLimitA+1], 0 // extend limit for pre-pad
s_cmp_eq_u32 s[sgprShadowLimitA+1], 0              // are we within 2^32?
s_cselect_b32 s[sgprSrdA+2], s[sgprShadowLimitA+0], BufferLimitA // Move shadow to real if we are within 2^32
                                                   // tileStart *= BPE (multiplier is 1, do nothing)
s_add_u32 s[sgprSrdA+0], s[sgprAddressA+0], s78    // SRD base = Address+ tileStart0
s_addc_u32 s[sgprSrdA+1], s[sgprAddressA+1], s79   // SRD base = Address+ tileStart1


/* global read addresses: addresses b */

/* max read offset = size[n] * stride[n-1] */
s_mul_hi_u32 s79, s[sgprWorkGroup1], 128           // WorkGroup[01] * MT
s_mul_i32 s78, s[sgprWorkGroup1], 128              // WorkGroup[01] * MT
s_mul_hi_u32 s79, s78, s[sgprStrideB1J]            // tlu=0, scaled tile-offset by stride
s_mul_i32 s78, s78, s[sgprStrideB1J]               // tlu=0, scaled tile-offset by stride
s_sub_u32 s[sgprShadowLimitB+0], s[sgprTensor2dSizeB], s78 // sub tileStart
s_subb_u32 s[sgprShadowLimitB+1], s[sgprTensor2dSizeB+1], s79 // sub tileStart
s_lshl_b64 s[sgprShadowLimitB:sgprShadowLimitB+1], s[sgprShadowLimitB:sgprShadowLimitB+1], 0x0 // Set limit to use bytes
s_add_u32 s[sgprShadowLimitB+0], s[sgprShadowLimitB+0], 16 // extend limit for pre-pad
s_addc_u32 s[sgprShadowLimitB+1], s[sgprShadowLimitB+1], 0 // extend limit for pre-pad
s_cmp_eq_u32 s[sgprShadowLimitB+1], 0              // are we within 2^32?
s_cselect_b32 s[sgprSrdB+2], s[sgprShadowLimitB+0], BufferLimitB // Move shadow to real if we are within 2^32
                                                   // tileStart *= BPE (multiplier is 1, do nothing)
s_add_u32 s[sgprSrdB+0], s[sgprAddressB+0], s78    // SRD base = Address+ tileStart0
s_addc_u32 s[sgprSrdB+1], s[sgprAddressB+1], s79   // SRD base = Address+ tileStart1


/* global read addresses: increments a */


	;; [unrolled: 1-line block ×3, first 2 shown]
/* global read addresses: increments b */


	;; [unrolled: 1-line block ×3, first 2 shown]
/******************************************/
/* Local Write Addresses                  */
/******************************************/

/* lwaTileAssignmentA = v43 */

/* lwaTileAssignmentB = v45 */

/* lwaUnrollAssignmentA = v44 */

/* lwaUnrollAssignmentB = v46 */


/* local write addresses: first offset a */

v_mul_u32_u24 v[vgprLocalWriteAddrA], 0x40, v43    // lwAL**(DepthU_Compute + PAD)
_v_add_lshl_u32 v[vgprLocalWriteAddrA], v44, v[vgprLocalWriteAddrA], 0x0 // lwFOA = (lwAA + lwAL*(DepthU+PAD))*bpe
v_lshrrev_b32 v44, 7, v[vgprLocalWriteAddrA]       // padding 16 per block 128
v_lshlrev_b32 v44, 0x4, v44                        // padding 16 per block 128
_v_add_u32 v[vgprLocalWriteAddrA], v44, v[vgprLocalWriteAddrA] // add padding 16 per block 128


/* local write addresses: first offset b */

v_mul_u32_u24 v[vgprLocalWriteAddrB], 0x40, v45    // lwBL**(DepthU_Compute + PAD)
_v_add_lshl_u32 v[vgprLocalWriteAddrB], v46, v[vgprLocalWriteAddrB], 0x0 // lwFOB = (lwBB + lwBL*(DepthU+PAD))*bpe
v_lshrrev_b32 v46, 7, v[vgprLocalWriteAddrB]       // padding 16 per block 128
v_lshlrev_b32 v46, 0x4, v46                        // padding 16 per block 128
_v_add_u32 v[vgprLocalWriteAddrB], v46, v[vgprLocalWriteAddrB] // add padding 16 per block 128
_v_add_co_u32 v[vgprLocalWriteAddrB], vcc, 0x1200, v[vgprLocalWriteAddrB] // lwFOB = lwB1J + lwBL*MT1J + LDS_OFFSET_B=4608*1


	;; [unrolled: 1-line block ×7, first 2 shown]
/* declare loop num iterations */


s_lshr_b32 s[sgprLoopCounterL], s[sgprSizesSum+0], 6 // s[sgprLoopCounterL] = s[sgprSizesSum+0] / 64
s_mov_b32 s[sgprOrigLoopCounter], s[sgprLoopCounterL] // copy loop counter

s_and_b32 s[sgprStaggerUIter], s[sgprOrigStaggerUIter], s[sgprWorkGroup0] // Compute actual stagger start for this tile
s_lshl_b32 s[sgprStaggerUIter], s[sgprStaggerUIter], 1 // shift by StaggerUStride


/* SRDs += (StaggerUIter) * GlobalReadIncsA+0 */
s_mul_hi_u32 s77, s[sgprStaggerUIter], s[sgprGlobalReadIncsA+0] //  stagger byte offset
s_mul_i32 s76, s[sgprStaggerUIter], s[sgprGlobalReadIncsA+0] //  stagger byte offset
s_mul_hi_u32 s[sgprWrapUA+1], s[sgprLoopCounterL], s[sgprGlobalReadIncsA+0] // Number of bytes accessed by the unroll loop
s_mul_i32 s[sgprWrapUA+0], s[sgprLoopCounterL], s[sgprGlobalReadIncsA+0] // Number of bytes accessed by the unroll loop
s_sub_u32 s[sgprWrapUA+0], s[sgprGlobalReadIncsA+0], s[sgprWrapUA+0] // remove one iteration
s_subb_u32 s[sgprWrapUA+1], 0, s[sgprWrapUA+1]     // remove one iteration
s_add_u32 s[sgprSrdA+0], s[sgprSrdA+0], s76        // gra SRD += inc(lower)
s_addc_u32  s[sgprSrdA+1], s[sgprSrdA+1], s77      // gra SRD += inc(upper)
s_sub_u32 s[sgprShadowLimitA+0], s[sgprShadowLimitA+0], s76 // limit -= inc)
s_subb_u32 s[sgprShadowLimitA+1], s[sgprShadowLimitA+1], s77 // limit -= inc)
s_cmp_eq_u32 s[sgprShadowLimitA+1], 0              // are we within 2^32?
s_cselect_b32 s[sgprSrdA+2], s[sgprShadowLimitA+0], BufferLimitA // Move shadow to real if we are within 2^32


/* SRDs += (StaggerUIter) * GlobalReadIncsB+0 */
s_mul_hi_u32 s77, s[sgprStaggerUIter], s[sgprGlobalReadIncsB+0] //  stagger byte offset
s_mul_i32 s76, s[sgprStaggerUIter], s[sgprGlobalReadIncsB+0] //  stagger byte offset
s_mul_hi_u32 s[sgprWrapUB+1], s[sgprLoopCounterL], s[sgprGlobalReadIncsB+0] // Number of bytes accessed by the unroll loop
s_mul_i32 s[sgprWrapUB+0], s[sgprLoopCounterL], s[sgprGlobalReadIncsB+0] // Number of bytes accessed by the unroll loop
s_sub_u32 s[sgprWrapUB+0], s[sgprGlobalReadIncsB+0], s[sgprWrapUB+0] // remove one iteration
s_subb_u32 s[sgprWrapUB+1], 0, s[sgprWrapUB+1]     // remove one iteration
s_add_u32 s[sgprSrdB+0], s[sgprSrdB+0], s76        // gra SRD += inc(lower)
s_addc_u32  s[sgprSrdB+1], s[sgprSrdB+1], s77      // gra SRD += inc(upper)
s_sub_u32 s[sgprShadowLimitB+0], s[sgprShadowLimitB+0], s76 // limit -= inc)
s_subb_u32 s[sgprShadowLimitB+1], s[sgprShadowLimitB+1], s77 // limit -= inc)
s_cmp_eq_u32 s[sgprShadowLimitB+1], 0              // are we within 2^32?
s_cselect_b32 s[sgprSrdB+2], s[sgprShadowLimitB+0], BufferLimitB // Move shadow to real if we are within 2^32
s_add_u32 s[sgprStaggerUIter], s[sgprStaggerUIter], 2 // Subtract (PGR-1); StaggerUIter now contains target iteration to wrap


/* prefetch: global -> local */


	;; [unrolled: 1-line block ×3, first 2 shown]
/******************************************/
/* End setupNewTile, isPap=True             */
/******************************************/

/******************************************/
/* PrefetchAcrossPersistent - Open        */
/******************************************/
s_mul_i32 s75, s[sgprNumWorkGroups0], s[sgprNumWorkGroups1] // Total WG-0x1
s_cmp_ge_u32 s[sgprSerialWorkGroupIter], s75       // outside legal WG?
s_cmov_b32 s[sgprSrdA+2], 0                        // Set SrdA+2 to 0 for outside legal WG
s_cmov_b32 s[sgprSrdB+2], 0                        // Set SrdB+2 to 0 for outside legal WG
s_cmov_b64 s[sgprShadowLimitA:sgprShadowLimitA+1], 0 // Set ShadowLimitA to 0 for outside legal WG
s_cmov_b64 s[sgprShadowLimitB:sgprShadowLimitB+1], 0 // Set ShadowLimitB to 0 for outside legal WG
s_cmov_b32 s[sgprGlobalReadIncsA], 0               // Stop decrementing ShadowLimitA and incrementing SrdA for outside legal WG
s_cmov_b32 s[sgprGlobalReadIncsB], 0               // Stop decrementing ShadowLimitB and incrementing SrdB for outside legal WG

/******************************************/
/* PrefetchAcrossPersistent - Close       */
/******************************************/


	;; [unrolled: 1-line block ×4, first 2 shown]
/* iter 0 (last unrolled loop) */

/*  grEndMfmaIndex:2, lwStartMfmaIndex:12, lwEndMfmaIndex:12  */
/*  numMfmaForLR:1, barrierMfmaIndex:14 */
/*  mfmaIndex:0  */
_buffer_load_b128 v[vgprG2LA+0:vgprG2LA+0+3], v[vgprGlobalReadOffsetA+0], s[sgprSrdA:sgprSrdA+3], 0, offen offset:0 // G -> Reg 0_0_0_0
s_waitcnt lgkmcnt(0)                               // lgkmcnt=0 vmcnt=-1wait for prior local read local write old=0, new=0 newLW=0 newLR=0
v_mfma_i32_32x32x8i8 a[0+0:15+0], v[vgprValuA_X0_I0+0+0+0], v[vgprValuB_X0_I0+0+0+0], a[0:15]
/*  mfmaIndex:1  */
_ds_load_b128 v[vgprValuA_X4_I0+0:vgprValuA_X4_I0+0+3], v[vgprLocalReadAddrA] offset:32 // L -> Reg lro=32 swapByteOffset=0 ti=64 vIdx=0 rIdx=0 oIdx=0 buffer=4 iui=0
_ds_load_b128 v[vgprValuB_X4_I0+0:vgprValuB_X4_I0+0+3], v[vgprLocalReadAddrB] offset:32 // L -> Reg lro=32 swapByteOffset=0 ti=64 vIdx=0 rIdx=0 oIdx=0 buffer=4 iui=0
_ds_load_b128 v[vgprValuB_X4_I0+4:vgprValuB_X4_I0+4+3], v[vgprLocalReadAddrB] offset:4640 // L -> Reg lro=32 swapByteOffset=0 ti=64 vIdx=1 rIdx=0 oIdx=0 buffer=4 iui=0
/* localReadsVacancy: latencyLeft 1 */
_buffer_load_b128 v[vgprG2LB+0:vgprG2LB+0+3], v[vgprGlobalReadOffsetB+0], s[sgprSrdB:sgprSrdB+3], 0, offen offset:0 // G -> Reg 0_0_0_0
v_mfma_i32_32x32x8i8 a[16+0:31+0], v[vgprValuA_X0_I0+0+0+0], v[vgprValuB_X0_I0+4+0+0], a[16:31]
/* numPrefetchIter=0 */
/* dataAtIterA=-1 numReadsIterA=1 skipReadsIterA=1 readsPerIterA=1 */
/* dataAtIterB=-1 numReadsIterB=1 skipReadsIterB=1 readsPerIterB=2 */


/* iter 1 (last unrolled loop) */

/*  grEndMfmaIndex:2, lwStartMfmaIndex:12, lwEndMfmaIndex:12  */
/*  numMfmaForLR:1, barrierMfmaIndex:14 */
/*  mfmaIndex:2  */
/* localReadsVacancy: latencyLeft 13 */
_buffer_load_b128 v[vgprG2LB+4:vgprG2LB+4+3], v[vgprGlobalReadOffsetB+0], s[sgprSrdB:sgprSrdB+3], s[sgprScalarGlobalReadOffsetB+0], offen offset:0 // G -> Reg 0_0_1_0
s_waitcnt lgkmcnt(3)                               // lgkmcnt=0 vmcnt=-1wait for prior local read local write old=0, new=3 newLW=0 newLR=3
v_mfma_i32_32x32x8i8 a[0+0:15+0], v[vgprValuA_X0_I0+0+1+0], v[vgprValuB_X0_I0+0+1+0], a[0:15]
/*  mfmaIndex:3  */
/* localReadsVacancy: latencyLeft 13 */

/* global read inc A loopL */
s_add_u32 s78, s[sgprLoopCounterL], 1              // remove pf(1)
s_cmp_eq_u32 s[sgprStaggerUIter], s78              // Is this wrapIter? (pf)
s_cselect_b32 s76, s[sgprWrapUA+0], s[sgprGlobalReadIncsA+0] // incLower <- ?
s_cselect_b32 s77, s[sgprWrapUA+1], 0              // incUpper <- ?
s_add_u32 s[sgprSrdA+0], s[sgprSrdA+0], s76        // gra SRD += inc(lower)
s_addc_u32  s[sgprSrdA+1], s[sgprSrdA+1], s77      // gra SRD += inc(upper)
s_sub_u32 s[sgprShadowLimitA+0], s[sgprShadowLimitA+0], s76 // limit -= inc)
v_mfma_i32_32x32x8i8 a[16+0:31+0], v[vgprValuA_X0_I0+0+1+0], v[vgprValuB_X0_I0+4+1+0], a[16:31]
/* numPrefetchIter=0 */
/* dataAtIterA=-1 numReadsIterA=1 skipReadsIterA=1 readsPerIterA=1 */
/* dataAtIterB=-1 numReadsIterB=1 skipReadsIterB=1 readsPerIterB=2 */


/* iter 2 (last unrolled loop) */

/*  grEndMfmaIndex:2, lwStartMfmaIndex:12, lwEndMfmaIndex:12  */
/*  numMfmaForLR:1, barrierMfmaIndex:14 */
/*  mfmaIndex:4  */
/* localReadsVacancy: latencyLeft 13 */
s_subb_u32 s[sgprShadowLimitA+1], s[sgprShadowLimitA+1], s77 // limit -= inc)
s_cmp_eq_u32 s[sgprShadowLimitA+1], 0              // are we within 2^32?
s_cselect_b32 s[sgprSrdA+2], s[sgprShadowLimitA+0], BufferLimitA // Move shadow to real if we are within 2^32

/* global read inc B loopL */
s_add_u32 s78, s[sgprLoopCounterL], 1              // remove pf(1)
s_cmp_eq_u32 s[sgprStaggerUIter], s78              // Is this wrapIter? (pf)
s_cselect_b32 s76, s[sgprWrapUB+0], s[sgprGlobalReadIncsB+0] // incLower <- ?
s_cselect_b32 s77, s[sgprWrapUB+1], 0              // incUpper <- ?
s_waitcnt lgkmcnt(3)                               // lgkmcnt=0 vmcnt=-1wait for prior local read local write old=0, new=3 newLW=0 newLR=3
v_mfma_i32_32x32x8i8 a[0+0:15+0], v[vgprValuA_X0_I0+0+2+0], v[vgprValuB_X0_I0+0+2+0], a[0:15]
/*  mfmaIndex:5  */
/* localReadsVacancy: latencyLeft 13 */
s_add_u32 s[sgprSrdB+0], s[sgprSrdB+0], s76        // gra SRD += inc(lower)
s_addc_u32  s[sgprSrdB+1], s[sgprSrdB+1], s77      // gra SRD += inc(upper)
s_sub_u32 s[sgprShadowLimitB+0], s[sgprShadowLimitB+0], s76 // limit -= inc)
s_subb_u32 s[sgprShadowLimitB+1], s[sgprShadowLimitB+1], s77 // limit -= inc)
s_cmp_eq_u32 s[sgprShadowLimitB+1], 0              // are we within 2^32?
s_cselect_b32 s[sgprSrdB+2], s[sgprShadowLimitB+0], BufferLimitB // Move shadow to real if we are within 2^32
v_mfma_i32_32x32x8i8 a[16+0:31+0], v[vgprValuA_X0_I0+0+2+0], v[vgprValuB_X0_I0+4+2+0], a[16:31]
/* numPrefetchIter=0 */
/* dataAtIterA=-1 numReadsIterA=1 skipReadsIterA=1 readsPerIterA=1 */
/* dataAtIterB=-1 numReadsIterB=1 skipReadsIterB=1 readsPerIterB=2 */


/* iter 3 (last unrolled loop) */

/*  grEndMfmaIndex:2, lwStartMfmaIndex:12, lwEndMfmaIndex:12  */
/*  numMfmaForLR:1, barrierMfmaIndex:14 */
/*  mfmaIndex:6  */
/* localReadsVacancy: latencyLeft 13 */
s_waitcnt lgkmcnt(3)                               // lgkmcnt=0 vmcnt=-1wait for prior local read local write old=0, new=3 newLW=0 newLR=3
v_mfma_i32_32x32x8i8 a[0+0:15+0], v[vgprValuA_X0_I0+0+3+0], v[vgprValuB_X0_I0+0+3+0], a[0:15]
/*  mfmaIndex:7  */
/* localReadsVacancy: latencyLeft 13 */
v_mfma_i32_32x32x8i8 a[16+0:31+0], v[vgprValuA_X0_I0+0+3+0], v[vgprValuB_X0_I0+4+3+0], a[16:31]
/* numPrefetchIter=0 */
/* dataAtIterA=-1 numReadsIterA=1 skipReadsIterA=1 readsPerIterA=1 */
/* dataAtIterB=-1 numReadsIterB=1 skipReadsIterB=1 readsPerIterB=2 */


/* iter 4 (last unrolled loop) */

/*  grEndMfmaIndex:2, lwStartMfmaIndex:12, lwEndMfmaIndex:12  */
/*  numMfmaForLR:1, barrierMfmaIndex:14 */
/*  mfmaIndex:8  */
/* localReadsVacancy: latencyLeft 13 */
s_waitcnt lgkmcnt(0)                               // lgkmcnt=0 vmcnt=-1wait for prior local read local write old=0, new=0 newLW=0 newLR=0
v_mfma_i32_32x32x8i8 a[0+0:15+0], v[vgprValuA_X4_I0+0+0+0], v[vgprValuB_X4_I0+0+0+0], a[0:15]
/*  mfmaIndex:9  */
/* localReadsVacancy: latencyLeft 13 */
v_mfma_i32_32x32x8i8 a[16+0:31+0], v[vgprValuA_X4_I0+0+0+0], v[vgprValuB_X4_I0+4+0+0], a[16:31]
/* numPrefetchIter=0 */
/* dataAtIterA=0 numReadsIterA=1 skipReadsIterA=0 readsPerIterA=1 */
/* dataAtIterB=0 numReadsIterB=1 skipReadsIterB=0 readsPerIterB=2 */


/* iter 5 (last unrolled loop) */

/*  grEndMfmaIndex:2, lwStartMfmaIndex:12, lwEndMfmaIndex:12  */
/*  numMfmaForLR:1, barrierMfmaIndex:14 */
/*  mfmaIndex:10  */
/* localReadsVacancy: latencyLeft 13 */
s_waitcnt lgkmcnt(0)                               // lgkmcnt=0 vmcnt=-1wait for prior local read local write old=0, new=0 newLW=0 newLR=0
v_mfma_i32_32x32x8i8 a[0+0:15+0], v[vgprValuA_X4_I0+0+1+0], v[vgprValuB_X4_I0+0+1+0], a[0:15]
/*  mfmaIndex:11  */
/* localReadsVacancy: latencyLeft 13 */
v_mfma_i32_32x32x8i8 a[16+0:31+0], v[vgprValuA_X4_I0+0+1+0], v[vgprValuB_X4_I0+4+1+0], a[16:31]
/* numPrefetchIter=0 */
/* dataAtIterA=0 numReadsIterA=1 skipReadsIterA=0 readsPerIterA=1 */
/* dataAtIterB=0 numReadsIterB=1 skipReadsIterB=0 readsPerIterB=2 */
	;; [unrolled: 16-line block ×3, first 2 shown]


/* iter 7 (last unrolled loop) */

/*  grEndMfmaIndex:2, lwStartMfmaIndex:12, lwEndMfmaIndex:12  */
/*  numMfmaForLR:1, barrierMfmaIndex:14 */
/*  mfmaIndex:14  */
s_waitcnt lgkmcnt(0)                               // lgkmcnt=0 vmcnt=-1wait for prior local read local write old=0, new=0 newLW=0 newLR=0
v_mfma_i32_32x32x8i8 a[0+0:15+0], v[vgprValuA_X4_I0+0+3+0], v[vgprValuB_X4_I0+0+3+0], a[0:15]
/*  mfmaIndex:15  */
v_mfma_i32_32x32x8i8 a[16+0:31+0], v[vgprValuA_X4_I0+0+3+0], v[vgprValuB_X4_I0+4+3+0], a[16:31]
/* numPrefetchIter=0 */
/* dataAtIterA=0 numReadsIterA=1 skipReadsIterA=0 readsPerIterA=1 */
/* dataAtIterB=0 numReadsIterB=1 skipReadsIterB=0 readsPerIterB=2 */


/* local write reset offsets a */

v_and_b32 v[vgprLocalWriteAddrA], 0xf03fff, v[vgprLocalWriteAddrA] // reset to Red


/* local write reset offsets b */

v_and_b32 v[vgprLocalWriteAddrB], 0xf03fff, v[vgprLocalWriteAddrB] // reset to Red


/* localReadResetOffsets */
/* handled internally */
v_and_b32 v[vgprLocalReadAddrA], 0x3fff, v[vgprLocalReadAddrA] // reset Red,Blk -> Red


/* localReadResetOffsets */
/* handled internally */
v_and_b32 v[vgprLocalReadAddrB], 0x3fff, v[vgprLocalReadAddrB] // reset Red,Blk -> Red

/* Stores for OptNLL */
Summation_End_OptNLL_25:
/* endSummation: add vgpr [0...24) to pool */

/* Mapping of Acc register -> C Vgpr register */
/* computeStoreVgprs */
v_lshrrev_b32 v4, 6, v[vgprSerial]                 // v4 = v[vgprSerial] / 64
v_lshrrev_b32 v1, 1, v4                            // v1 = v4 / 2
v_mul_lo_u32 v1, 0x20, v1                          // wave coordination offset 1
v_and_b32 v5, 31, v[vgprSerial]                    // v5 = v[vgprSerial] % 32
_v_add_lshl_u32 v1, v5, v1, 0                      // coordination 1 = vwb *(wave_id1 + tid1)
v_mul_lo_u32 v2, v1, s[sgprStrideC1J]              //  offset 1
v_mul_lo_u32 v3, v1, s[sgprStrideD1J]              //  offset 1
v_and_b32 v0, 63, v[vgprSerial]                    // v0 = v[vgprSerial] % 64
v_lshrrev_b32 v0, 5, v0                            // v0 = v0 / 32
v_lshlrev_b32 v0, 0x2, v0                          // thread0 * continuous_output
v_and_b32 v5, 1, v4                                // v5 = v4 % 2
v_mul_lo_u32 v5, 0x20, v5                          // wave coordination offset 0
_v_add_lshl_u32 v0, v5, v0, 0                      // coordination 0 = vwa *(wave_id0 + tid0)
s_mul_i32 s75, 64, s[sgprPrevWorkGroup0]           // wgp0 * MT0
_v_add_u32 v0, s75, v0                             // coord 0 = (tid0/MI_m)*4 + waveG0*MIB_m + MT0*SG0
s_mul_i32 s75, 128, s[sgprPrevWorkGroup1]          // wgp1 * MT1
_v_add_u32 v1, s75, v1                             // coord 1 = (tid0%MI_m) + waveG1*MIB_n + MT1*SG1
/* Store Remap Local Write address */
v_lshrrev_b32 v5, 7, v[vgprSerial]                 // v5 = v[vgprSerial] / 128
v_and_b32 v4, 127, v[vgprSerial]                   // v4 = v[vgprSerial] % 128
v_mul_lo_u32 v13, 0x20, v5                         // coord1 offset of LDS for each Wave
v_and_b32 v5, 0x1f, v[vgprSerial]                  // coord1 offset of LDS for each thread
_v_add_u32 v5, v13, v5                             // coord1 offset in MacroTile
v_mov_b32 v11, 0x44                                // lds stride = MT0 + PAD
v_mul_lo_u32 v9, v5, v11                           // lds coord1 offset = Col-id* lds stride
v_lshrrev_b32 v10, 6, v4                           // v10 = v4 / 64
v_and_b32 v4, 63, v4                               // v4 = v4 % 64
v_lshrrev_b32 v12, 0x5, v4                         // tid / matrixInstN
v_lshlrev_b32 v12, 0x2, v12                        // lds coord0 offset *= 4 (each thread hold 4 element)
v_mad_u32_u24 v12, 32, v10, v12                    // coord0 += waveCoord0 * wave M shape(blockM*MiM)
_v_add_lshl_u32 v7, v9, v12, 0x2                   // local write C address

/* Store Remap Local Read address */
v_lshrrev_b32 v5, 6, v[vgprSerial]                 // v5 = v[vgprSerial] / 64
v_and_b32 v4, 63, v[vgprSerial]                    // v4 = v[vgprSerial] % 64
v_mul_lo_u32 v13, 0x10, v5                         // coord1 offset of LDS for each Wave
v_lshrrev_b32 v10, 0x4, v4                         // tid / nThreadPerCol
_v_add_u32 v6, v13, v10                            // coord1 offset in MacroTile
v_mul_lo_u32 v9, v6, v11                           // lds coord1 offset = Col-id* lds stride
v_and_b32 v12, 0xf, v4                             // coord0 offset of LDS for each thread
v_lshlrev_b32 v12, 0x2, v12                        // lds coord0 offset *= gwvw (each thread hold gwvw element)
_v_add_lshl_u32 v8, v9, v12, 0x2                   // local read C address

/* Store Remap global write coord0 and coord1 */
v_lshrrev_b32 v5, 7, v[vgprSerial]                 // v5 = v[vgprSerial] / 128
v_and_b32 v4, 127, v[vgprSerial]                   // v4 = v[vgprSerial] % 128
v_mul_lo_u32 v13, 0x20, v5                         // coord1 offset of global memory for each Wave
v_lshrrev_b32 v5, 6, v4                            // v5 = v4 / 64
v_and_b32 v4, 63, v4                               // v4 = v4 % 64
v_mad_u32_u24 v13, 16, v5, v13                     // waveCoord1 += waveCoord0 * MiN / WaveGroupM
v_lshrrev_b32 v10, 0x4, v4                         // tid / nThreadPerCol
_v_add_u32 v6, v13, v10                            // coord1 offset in MacroTile
s_mul_i32 s76, 0x40, s[sgprPrevWorkGroup0]         // s76 = wg0*MT0
_v_add_co_u32 v4, vcc, s76, v12                    // coord0 = coord0 + wg0 * MT0
s_mul_i32 s77, MT1, s[sgprPrevWorkGroup1]          // <- wg1*MT1
_v_add_co_u32 v5, vcc, s77, v6                     // coord1 = tid1*VW + wg1*MT1

// Skip force waitcnt0
s_barrier //StoreRemap Start
GW_B0_E0_28:

/* edge=0, allocate 2 sgpr. perBatchTmpS=2 perBatchMaskS=0 perElementMaskS=0 elementsPerBatch=4 */
/* optSingleColVgpr=1 optSharedColVgpr=0 optSGPRUsage=BufferLoad_Mask optSrdIncForRow=1 */

/******************************************/
/* Global Write Batch #0 (d1,d0,vc1,vc0) = */
/*    (0,0,0,0:vw4); (0,1,0,0:vw4); (0,2,0,0:vw4); (0,3,0,0:vw4) */
/******************************************/

/* calc coords, apply mask, and issue loads (if necessary) */
/* (d1,vc1,d0,vc0)=(0,0,0,0) */
/* (d1,vc1,d0,vc0)=(0,0,1,0) */
	;; [unrolled: 1-line block ×4, first 2 shown]
_v_add_lshl_u32 v9, v3, v0, 0x2                    // optSingleColVgpr scaleToBpe: sharedAddrVgpr <- cinRowPtr + coord0, scaled by BPE. BSHERE:coord0=0, coord0Vgpr=0
v_accvgpr_read_b32 v[vgprValuC+16], acc0 // copy acc to vreg[0]
v_accvgpr_read_b32 v[vgprValuC+17], acc1 // copy acc to vreg[1]
v_accvgpr_read_b32 v[vgprValuC+18], acc2 // copy acc to vreg[2]
v_accvgpr_read_b32 v[vgprValuC+19], acc3 // copy acc to vreg[3]
v_accvgpr_read_b32 v[vgprValuC+20], acc4 // copy acc to vreg[4]
v_accvgpr_read_b32 v[vgprValuC+21], acc5 // copy acc to vreg[5]
v_accvgpr_read_b32 v[vgprValuC+22], acc6 // copy acc to vreg[6]
v_accvgpr_read_b32 v[vgprValuC+23], acc7 // copy acc to vreg[7]
v_accvgpr_read_b32 v[vgprValuC+44], acc8 // copy acc to vreg[8]
v_accvgpr_read_b32 v[vgprValuC+45], acc9 // copy acc to vreg[9]
v_accvgpr_read_b32 v[vgprValuC+46], acc10 // copy acc to vreg[10]
v_accvgpr_read_b32 v[vgprValuC+47], acc11 // copy acc to vreg[11]
v_accvgpr_read_b32 v[vgprValuC+48], acc12 // copy acc to vreg[12]
v_accvgpr_read_b32 v[vgprValuC+49], acc13 // copy acc to vreg[13]
v_accvgpr_read_b32 v[vgprValuC+50], acc14 // copy acc to vreg[14]
v_accvgpr_read_b32 v[vgprValuC+51], acc15 // copy acc to vreg[15]
s_nop 1                                            // 2 wait states required before reading vgpr

/* apply mask, calc new C and issue writes */
_ds_store_b128 v7, v[16:19], offset:0              // storeRemap lw
_ds_store_b128 v7, v[20:23], offset:32             // storeRemap lw
_ds_store_b128 v7, v[44:47], offset:64             // storeRemap lw
_ds_store_b128 v7, v[48:51], offset:96             // storeRemap lw

/* Handle local read and global write */
s_waitcnt lgkmcnt(0)                               // wait for LDS write
s_barrier //wait all lds write finished

_ds_load_b128 v[16:19], v8, offset:0               // storeRemap lr
_ds_load_b128 v[20:23], v8, offset:1088            // storeRemap lr
_ds_load_b128 v[44:47], v8, offset:2176            // storeRemap lr
	;; [unrolled: 1-line block ×3, first 2 shown]

v_mov_b32 v13, v6                                  // coord1
v_mul_lo_u32 v13, v13, s[sgprStrideD1J]            // coord1 offset =  coord1 * StrideD
_v_add_lshl_u32 v13, v13, v4, 0x2                  // global write D address
s_waitcnt lgkmcnt(3)                               // wait for LDS read
_buffer_store_b128 v[16:19], v13, s[sgprSrdD:sgprSrdD+3], 0, offen, offset:0 // store D
_v_add_u32 v13, v6, 4                              // coord1 += nColPerLoad
v_mul_lo_u32 v13, v13, s[sgprStrideD1J]            // coord1 offset =  coord1 * StrideD
_v_add_lshl_u32 v13, v13, v4, 0x2                  // global write D address
s_waitcnt lgkmcnt(2)                               // wait for LDS read
_buffer_store_b128 v[20:23], v13, s[sgprSrdD:sgprSrdD+3], 0, offen, offset:0 // store D
_v_add_u32 v13, v6, 8                              // coord1 += nColPerLoad
v_mul_lo_u32 v13, v13, s[sgprStrideD1J]            // coord1 offset =  coord1 * StrideD
_v_add_lshl_u32 v13, v13, v4, 0x2                  // global write D address
s_waitcnt lgkmcnt(1)                               // wait for LDS read
_buffer_store_b128 v[44:47], v13, s[sgprSrdD:sgprSrdD+3], 0, offen, offset:0 // store D
_v_add_u32 v13, v6, 12                             // coord1 += nColPerLoad
v_mul_lo_u32 v13, v13, s[sgprStrideD1J]            // coord1 offset =  coord1 * StrideD
_v_add_lshl_u32 v13, v13, v4, 0x2                  // global write D address
s_waitcnt lgkmcnt(0)                               // wait for LDS read
_buffer_store_b128 v[48:51], v13, s[sgprSrdD:sgprSrdD+3], 0, offen, offset:0 // store D

s_barrier //wait all lds read finished
s_nop 0                                            // 1 wait state required when next inst writes vgprs held by previous dwordx4 store inst
/* optSingleColVgpr=1 optSharedColVgpr=0 optSGPRUsage=BufferLoad_Mask optSrdIncForRow=1 */

/******************************************/
/* Global Write Batch #1 (d1,d0,vc1,vc0) = */
/*    (1,0,0,0:vw4); (1,1,0,0:vw4); (1,2,0,0:vw4); (1,3,0,0:vw4) */
/******************************************/

/* calc coords, apply mask, and issue loads (if necessary) */
/* (d1,vc1,d0,vc0)=(1,0,0,0) */
/* (d1,vc1,d0,vc0)=(1,0,1,0) */
	;; [unrolled: 1-line block ×4, first 2 shown]
v_accvgpr_read_b32 v[vgprValuC+16], acc16 // copy acc to vreg[16]
v_accvgpr_read_b32 v[vgprValuC+17], acc17 // copy acc to vreg[17]
v_accvgpr_read_b32 v[vgprValuC+18], acc18 // copy acc to vreg[18]
v_accvgpr_read_b32 v[vgprValuC+19], acc19 // copy acc to vreg[19]
v_accvgpr_read_b32 v[vgprValuC+20], acc20 // copy acc to vreg[20]
v_accvgpr_read_b32 v[vgprValuC+21], acc21 // copy acc to vreg[21]
v_accvgpr_read_b32 v[vgprValuC+22], acc22 // copy acc to vreg[22]
v_accvgpr_read_b32 v[vgprValuC+23], acc23 // copy acc to vreg[23]
v_accvgpr_read_b32 v[vgprValuC+44], acc24 // copy acc to vreg[24]
v_accvgpr_read_b32 v[vgprValuC+45], acc25 // copy acc to vreg[25]
v_accvgpr_read_b32 v[vgprValuC+46], acc26 // copy acc to vreg[26]
v_accvgpr_read_b32 v[vgprValuC+47], acc27 // copy acc to vreg[27]
v_accvgpr_read_b32 v[vgprValuC+48], acc28 // copy acc to vreg[28]
v_accvgpr_read_b32 v[vgprValuC+49], acc29 // copy acc to vreg[29]
v_accvgpr_read_b32 v[vgprValuC+50], acc30 // copy acc to vreg[30]
v_accvgpr_read_b32 v[vgprValuC+51], acc31 // copy acc to vreg[31]
s_nop 1                                            // 2 wait states required before reading vgpr

/* apply mask, calc new C and issue writes */

/* StoreRemap: shift coord1 address */
s_mul_i32 s76, s[sgprStrideD1J], 256               // scale StrideD *= numRows(64) * bpe
s_add_u32  s[sgprSrdD+0], s[sgprSrdD+0], s76       // incToNextRow: gra SRD += inc(lower)
s_addc_u32  s[sgprSrdD+1], s[sgprSrdD+1], 0        // incToNextRow: gra SRD += inc(upper)
v_mov_b32 v10, 64                                  // set shift rows
_v_add_u32 v5, v5, v10                             // shift storeRemap coord1
_ds_store_b128 v7, v[16:19], offset:0              // storeRemap lw
_ds_store_b128 v7, v[20:23], offset:32             // storeRemap lw
_ds_store_b128 v7, v[44:47], offset:64             // storeRemap lw
	;; [unrolled: 1-line block ×3, first 2 shown]

/* Handle local read and global write */
s_waitcnt lgkmcnt(0)                               // wait for LDS write
s_barrier //wait all lds write finished

_ds_load_b128 v[16:19], v8, offset:0               // storeRemap lr
_ds_load_b128 v[20:23], v8, offset:1088            // storeRemap lr
_ds_load_b128 v[44:47], v8, offset:2176            // storeRemap lr
	;; [unrolled: 1-line block ×3, first 2 shown]

v_mov_b32 v13, v6                                  // coord1
v_mul_lo_u32 v13, v13, s[sgprStrideD1J]            // coord1 offset =  coord1 * StrideD
_v_add_lshl_u32 v13, v13, v4, 0x2                  // global write D address
s_waitcnt lgkmcnt(3)                               // wait for LDS read
_buffer_store_b128 v[16:19], v13, s[sgprSrdD:sgprSrdD+3], 0, offen, offset:0 // store D
_v_add_u32 v13, v6, 4                              // coord1 += nColPerLoad
v_mul_lo_u32 v13, v13, s[sgprStrideD1J]            // coord1 offset =  coord1 * StrideD
_v_add_lshl_u32 v13, v13, v4, 0x2                  // global write D address
s_waitcnt lgkmcnt(2)                               // wait for LDS read
_buffer_store_b128 v[20:23], v13, s[sgprSrdD:sgprSrdD+3], 0, offen, offset:0 // store D
_v_add_u32 v13, v6, 8                              // coord1 += nColPerLoad
v_mul_lo_u32 v13, v13, s[sgprStrideD1J]            // coord1 offset =  coord1 * StrideD
_v_add_lshl_u32 v13, v13, v4, 0x2                  // global write D address
s_waitcnt lgkmcnt(1)                               // wait for LDS read
_buffer_store_b128 v[44:47], v13, s[sgprSrdD:sgprSrdD+3], 0, offen, offset:0 // store D
_v_add_u32 v13, v6, 12                             // coord1 += nColPerLoad
v_mul_lo_u32 v13, v13, s[sgprStrideD1J]            // coord1 offset =  coord1 * StrideD
_v_add_lshl_u32 v13, v13, v4, 0x2                  // global write D address
s_waitcnt lgkmcnt(0)                               // wait for LDS read
_buffer_store_b128 v[48:51], v13, s[sgprSrdD:sgprSrdD+3], 0, offen, offset:0 // store D

s_barrier //wait all lds read finished
s_nop 0                                            // 1 wait state required when next inst writes vgprs held by previous dwordx4 store inst
s_mov_b32 s[sgprPreLoopLWVmcntCase], 0x2           // for optimizing next PreLoop LW vmcnt, set to Case2
s_branch label_GW_End_30                           // jump to end
label_GW_End_30:

s_mul_i32 s75, s[sgprNumWorkGroups0], s[sgprNumWorkGroups1] // Total WG-0x1
s_cmp_ge_u32 s[sgprSerialWorkGroupIter], s75       // outside legal WG?
s_cbranch_scc1 label_NoBranch_35                   // Only branch on scc0
s_getpc_B64 s[76:77]                               // addr of next instr
s_add_i32 s78, label_0013, 0x4                     // target branch offset
s_abs_i32 s78, s78                                 // abs offset
s_sub_u32 s76, s76, s78                            // sub target branch offset
s_subb_u32 s77, s77, 0                             // sub high and carry
s_setpc_b64 s[76:77]                               // branch to label_0013
label_NoBranch_35:
s_endpgm                                           // Kernel End
OptNLL_End_24:


/******************************************/
/* Ord. NoLoadLoop - Begin                                      */
/******************************************/


	;; [unrolled: 1-line block ×4, first 2 shown]
/* iter 0 (last unrolled loop) */

/*  grEndMfmaIndex:0, lwStartMfmaIndex:12, lwEndMfmaIndex:12  */
/*  numMfmaForLR:1, barrierMfmaIndex:14 */
/*  mfmaIndex:0  */
s_waitcnt lgkmcnt(0)                               // lgkmcnt=0 vmcnt=-1wait for prior local read local write old=0, new=0 newLW=0 newLR=0
v_mfma_i32_32x32x8i8 a[0+0:15+0], v[vgprValuA_X0_I0+0+0+0], v[vgprValuB_X0_I0+0+0+0], a[0:15]
/*  mfmaIndex:1  */
_ds_load_b128 v[vgprValuA_X4_I0+0:vgprValuA_X4_I0+0+3], v[vgprLocalReadAddrA] offset:32 // L -> Reg lro=32 swapByteOffset=0 ti=64 vIdx=0 rIdx=0 oIdx=0 buffer=4 iui=0
_ds_load_b128 v[vgprValuB_X4_I0+0:vgprValuB_X4_I0+0+3], v[vgprLocalReadAddrB] offset:32 // L -> Reg lro=32 swapByteOffset=0 ti=64 vIdx=0 rIdx=0 oIdx=0 buffer=4 iui=0
_ds_load_b128 v[vgprValuB_X4_I0+4:vgprValuB_X4_I0+4+3], v[vgprLocalReadAddrB] offset:4640 // L -> Reg lro=32 swapByteOffset=0 ti=64 vIdx=1 rIdx=0 oIdx=0 buffer=4 iui=0
/* localReadsVacancy: latencyLeft 1 */
v_mfma_i32_32x32x8i8 a[16+0:31+0], v[vgprValuA_X0_I0+0+0+0], v[vgprValuB_X0_I0+4+0+0], a[16:31]
/* numPrefetchIter=0 */
/* dataAtIterA=-1 numReadsIterA=1 skipReadsIterA=1 readsPerIterA=1 */
/* dataAtIterB=-1 numReadsIterB=1 skipReadsIterB=1 readsPerIterB=2 */


/* iter 1 (last unrolled loop) */

/*  grEndMfmaIndex:0, lwStartMfmaIndex:12, lwEndMfmaIndex:12  */
/*  numMfmaForLR:1, barrierMfmaIndex:14 */
/*  mfmaIndex:2  */
/* localReadsVacancy: latencyLeft 13 */
s_waitcnt lgkmcnt(3)                               // lgkmcnt=0 vmcnt=-1wait for prior local read local write old=0, new=3 newLW=0 newLR=3
v_mfma_i32_32x32x8i8 a[0+0:15+0], v[vgprValuA_X0_I0+0+1+0], v[vgprValuB_X0_I0+0+1+0], a[0:15]
/*  mfmaIndex:3  */
/* localReadsVacancy: latencyLeft 13 */
v_mfma_i32_32x32x8i8 a[16+0:31+0], v[vgprValuA_X0_I0+0+1+0], v[vgprValuB_X0_I0+4+1+0], a[16:31]
/* numPrefetchIter=0 */
/* dataAtIterA=-1 numReadsIterA=1 skipReadsIterA=1 readsPerIterA=1 */
/* dataAtIterB=-1 numReadsIterB=1 skipReadsIterB=1 readsPerIterB=2 */


/* iter 2 (last unrolled loop) */

/*  grEndMfmaIndex:0, lwStartMfmaIndex:12, lwEndMfmaIndex:12  */
/*  numMfmaForLR:1, barrierMfmaIndex:14 */
/*  mfmaIndex:4  */
/* localReadsVacancy: latencyLeft 13 */
s_waitcnt lgkmcnt(3)                               // lgkmcnt=0 vmcnt=-1wait for prior local read local write old=0, new=3 newLW=0 newLR=3
v_mfma_i32_32x32x8i8 a[0+0:15+0], v[vgprValuA_X0_I0+0+2+0], v[vgprValuB_X0_I0+0+2+0], a[0:15]
/*  mfmaIndex:5  */
	;; [unrolled: 16-line block ×3, first 2 shown]
/* localReadsVacancy: latencyLeft 13 */
v_mfma_i32_32x32x8i8 a[16+0:31+0], v[vgprValuA_X0_I0+0+3+0], v[vgprValuB_X0_I0+4+3+0], a[16:31]
/* numPrefetchIter=0 */
/* dataAtIterA=-1 numReadsIterA=1 skipReadsIterA=1 readsPerIterA=1 */
/* dataAtIterB=-1 numReadsIterB=1 skipReadsIterB=1 readsPerIterB=2 */


/* iter 4 (last unrolled loop) */

/*  grEndMfmaIndex:0, lwStartMfmaIndex:12, lwEndMfmaIndex:12  */
/*  numMfmaForLR:1, barrierMfmaIndex:14 */
/*  mfmaIndex:8  */
/* localReadsVacancy: latencyLeft 13 */
s_waitcnt lgkmcnt(0)                               // lgkmcnt=0 vmcnt=-1wait for prior local read local write old=0, new=0 newLW=0 newLR=0
v_mfma_i32_32x32x8i8 a[0+0:15+0], v[vgprValuA_X4_I0+0+0+0], v[vgprValuB_X4_I0+0+0+0], a[0:15]
/*  mfmaIndex:9  */
/* localReadsVacancy: latencyLeft 13 */
v_mfma_i32_32x32x8i8 a[16+0:31+0], v[vgprValuA_X4_I0+0+0+0], v[vgprValuB_X4_I0+4+0+0], a[16:31]
/* numPrefetchIter=0 */
/* dataAtIterA=0 numReadsIterA=1 skipReadsIterA=0 readsPerIterA=1 */
/* dataAtIterB=0 numReadsIterB=1 skipReadsIterB=0 readsPerIterB=2 */


/* iter 5 (last unrolled loop) */

/*  grEndMfmaIndex:0, lwStartMfmaIndex:12, lwEndMfmaIndex:12  */
/*  numMfmaForLR:1, barrierMfmaIndex:14 */
/*  mfmaIndex:10  */
/* localReadsVacancy: latencyLeft 13 */
s_waitcnt lgkmcnt(0)                               // lgkmcnt=0 vmcnt=-1wait for prior local read local write old=0, new=0 newLW=0 newLR=0
v_mfma_i32_32x32x8i8 a[0+0:15+0], v[vgprValuA_X4_I0+0+1+0], v[vgprValuB_X4_I0+0+1+0], a[0:15]
/*  mfmaIndex:11  */
/* localReadsVacancy: latencyLeft 13 */
v_mfma_i32_32x32x8i8 a[16+0:31+0], v[vgprValuA_X4_I0+0+1+0], v[vgprValuB_X4_I0+4+1+0], a[16:31]
/* numPrefetchIter=0 */
/* dataAtIterA=0 numReadsIterA=1 skipReadsIterA=0 readsPerIterA=1 */
/* dataAtIterB=0 numReadsIterB=1 skipReadsIterB=0 readsPerIterB=2 */
	;; [unrolled: 16-line block ×3, first 2 shown]


/* iter 7 (last unrolled loop) */

/*  grEndMfmaIndex:0, lwStartMfmaIndex:12, lwEndMfmaIndex:12  */
/*  numMfmaForLR:1, barrierMfmaIndex:14 */
/*  mfmaIndex:14  */
s_waitcnt lgkmcnt(0)                               // lgkmcnt=0 vmcnt=-1wait for prior local read local write old=0, new=0 newLW=0 newLR=0
v_mfma_i32_32x32x8i8 a[0+0:15+0], v[vgprValuA_X4_I0+0+3+0], v[vgprValuB_X4_I0+0+3+0], a[0:15]
/*  mfmaIndex:15  */
v_mfma_i32_32x32x8i8 a[16+0:31+0], v[vgprValuA_X4_I0+0+3+0], v[vgprValuB_X4_I0+4+3+0], a[16:31]
/* numPrefetchIter=0 */
/* dataAtIterA=0 numReadsIterA=1 skipReadsIterA=0 readsPerIterA=1 */
/* dataAtIterB=0 numReadsIterB=1 skipReadsIterB=0 readsPerIterB=2 */

PrefetchGlobalLastIterEnd_5:


/******************************************/
/* Tail Loop                              */
/******************************************/


/* local write reset offsets a */


v_and_b32 v[vgprLocalWriteAddrA], 0xf03fff, v[vgprLocalWriteAddrA] // reset to Red


/* local write reset offsets b */


v_and_b32 v[vgprLocalWriteAddrB], 0xf03fff, v[vgprLocalWriteAddrB] // reset to Red


//numIterL = (((sizeL % LOCAL_DEPTHU) + LOCAL_SPLITU - 1) / LOCAL_SPLITU)
s_and_b32 s[sgprTailLoopCounter], 63, s[sgprSizesSum+0] // s[sgprTailLoopCounter] = s[sgprSizesSum+0] % 64
s_cmp_eq_u32 s[sgprTailLoopCounter], 0x0           // numIterL == 0
s_cbranch_scc1 SkipTailLoopL_8                     // skip to end of tail loop b/c numIter==0
s_mov_b32 s[sgprOrigLoopCounter], 0                // repurpose to count each localRead increment


/* remove stagger offsets for tail loop */

s_mov_b32 s78, 3                                   // 
s_mul_hi_u32 s77, s78, s[sgprGlobalReadIncsA+0]    // 3 * GlobalReadIncs
s_mul_i32 s76, s78, s[sgprGlobalReadIncsA+0]       // 3 * GlobalReadIncs
s_mul_hi_u32 s79, s[sgprStaggerUIter], s[sgprGlobalReadIncsA+0] // StaggerUIter * GlobalReadIncs
s_mul_i32 s78, s[sgprStaggerUIter], s[sgprGlobalReadIncsA+0] // StaggerUIter * GlobalReadIncs
s_sub_u32 s76, s76, s78                            // start offset S in bytes
s_subb_u32 s77, s77, s79                           // start offset S in bytes
s_sub_u32 s76, s76, s[sgprWrapUA]                  // S - WrapU
s_subb_u32 s77, s77, s[sgprWrapUA+1]               // S - WrapU
s_add_u32 s[sgprSrdA+0], s[sgprSrdA+0], s76        // gra SRD += inc(lower)
s_addc_u32  s[sgprSrdA+1], s[sgprSrdA+1], s77      // gra SRD += inc(upper)
s_sub_u32 s[sgprShadowLimitA+0], s[sgprShadowLimitA+0], s76 // limit -= inc)
s_subb_u32 s[sgprShadowLimitA+1], s[sgprShadowLimitA+1], s77 // limit -= inc)
s_cmp_eq_u32 s[sgprShadowLimitA+1], 0              // are we within 2^32?
s_cselect_b32 s[sgprSrdA+2], s[sgprShadowLimitA+0], BufferLimitA // Move shadow to real if we are within 2^32

s_mov_b32 s78, 3                                   // 
s_mul_hi_u32 s77, s78, s[sgprGlobalReadIncsB+0]    // 3 * GlobalReadIncs
s_mul_i32 s76, s78, s[sgprGlobalReadIncsB+0]       // 3 * GlobalReadIncs
s_mul_hi_u32 s79, s[sgprStaggerUIter], s[sgprGlobalReadIncsB+0] // StaggerUIter * GlobalReadIncs
s_mul_i32 s78, s[sgprStaggerUIter], s[sgprGlobalReadIncsB+0] // StaggerUIter * GlobalReadIncs
s_sub_u32 s76, s76, s78                            // start offset S in bytes
s_subb_u32 s77, s77, s79                           // start offset S in bytes
s_sub_u32 s76, s76, s[sgprWrapUB]                  // S - WrapU
s_subb_u32 s77, s77, s[sgprWrapUB+1]               // S - WrapU
s_add_u32 s[sgprSrdB+0], s[sgprSrdB+0], s76        // gra SRD += inc(lower)
s_addc_u32  s[sgprSrdB+1], s[sgprSrdB+1], s77      // gra SRD += inc(upper)
s_sub_u32 s[sgprShadowLimitB+0], s[sgprShadowLimitB+0], s76 // limit -= inc)
s_subb_u32 s[sgprShadowLimitB+1], s[sgprShadowLimitB+1], s77 // limit -= inc)
s_cmp_eq_u32 s[sgprShadowLimitB+1], 0              // are we within 2^32?
s_cselect_b32 s[sgprSrdB+2], s[sgprShadowLimitB+0], BufferLimitB // Move shadow to real if we are within 2^32


/* Update M0 for DTLDS */


	;; [unrolled: 1-line block ×3, first 2 shown]
/* global read a */

/* g2l=0, load component 0 */
_buffer_load_d16_u8 v[vgprG2LA+0+0], v[vgprGlobalReadOffsetA+0], s[sgprSrdA:sgprSrdA+3], 0, offen offset:0 // load one buffer value
/* g2l=0, load component 1 */
_buffer_load_d16_u8 v43, v[vgprGlobalReadOffsetA+0], s[sgprSrdA:sgprSrdA+3], 0, offen offset:1 // load one buffer value
/* g2l=0, load component 2 */
_buffer_load_d16_hi_u8 v44, v[vgprGlobalReadOffsetA+0], s[sgprSrdA:sgprSrdA+3], 0, offen offset:2 // load one buffer value
/* g2l=0, load component 3 */
_buffer_load_d16_hi_u8 v45, v[vgprGlobalReadOffsetA+0], s[sgprSrdA:sgprSrdA+3], 0, offen offset:3 // load one buffer value
/* g2l=0, load component 4 */
_buffer_load_d16_u8 v[vgprG2LA+0+1], v[vgprGlobalReadOffsetA+0], s[sgprSrdA:sgprSrdA+3], 0, offen offset:4 // load one buffer value
/* g2l=0, load component 5 */
_buffer_load_d16_u8 v47, v[vgprGlobalReadOffsetA+0], s[sgprSrdA:sgprSrdA+3], 0, offen offset:5 // load one buffer value
/* g2l=0, load component 6 */
_buffer_load_d16_hi_u8 v48, v[vgprGlobalReadOffsetA+0], s[sgprSrdA:sgprSrdA+3], 0, offen offset:6 // load one buffer value
/* g2l=0, load component 7 */
_buffer_load_d16_hi_u8 v49, v[vgprGlobalReadOffsetA+0], s[sgprSrdA:sgprSrdA+3], 0, offen offset:7 // load one buffer value
	;; [unrolled: 8-line block ×4, first 2 shown]
s_waitcnt vmcnt(14)
v_lshlrev_b32 v43, 0x8, v43                        // shift left to higher 8 bits
v_or_b32 v[vgprG2LA+0+0], v[vgprG2LA+0+0], v43     // pack a sub 8-bit with dest
s_waitcnt vmcnt(13)
v_or_b32 v[vgprG2LA+0+0], v[vgprG2LA+0+0], v44     // pack a sub 8-bit with dest
s_waitcnt vmcnt(12)
v_lshlrev_b32 v45, 0x8, v45                        // shift left to higher 8 bits
v_or_b32 v[vgprG2LA+0+0], v[vgprG2LA+0+0], v45     // pack a sub 8-bit with dest
s_waitcnt vmcnt(10)
v_lshlrev_b32 v47, 0x8, v47                        // shift left to higher 8 bits
v_or_b32 v[vgprG2LA+0+1], v[vgprG2LA+0+1], v47     // pack a sub 8-bit with dest
s_waitcnt vmcnt(9)
v_or_b32 v[vgprG2LA+0+1], v[vgprG2LA+0+1], v48     // pack a sub 8-bit with dest
s_waitcnt vmcnt(8)
v_lshlrev_b32 v49, 0x8, v49                        // shift left to higher 8 bits
v_or_b32 v[vgprG2LA+0+1], v[vgprG2LA+0+1], v49     // pack a sub 8-bit with dest
	;; [unrolled: 8-line block ×4, first 2 shown]


/* Update M0 for DTLDS */


	;; [unrolled: 1-line block ×3, first 2 shown]
/* global read b */

/* g2l=0, load component 0 */
_buffer_load_d16_u8 v[vgprG2LB+0+0], v[vgprGlobalReadOffsetB+0], s[sgprSrdB:sgprSrdB+3], 0, offen offset:0 // load one buffer value
/* g2l=0, load component 1 */
_buffer_load_d16_u8 v43, v[vgprGlobalReadOffsetB+0], s[sgprSrdB:sgprSrdB+3], 0, offen offset:1 // load one buffer value
/* g2l=0, load component 2 */
_buffer_load_d16_hi_u8 v44, v[vgprGlobalReadOffsetB+0], s[sgprSrdB:sgprSrdB+3], 0, offen offset:2 // load one buffer value
/* g2l=0, load component 3 */
_buffer_load_d16_hi_u8 v45, v[vgprGlobalReadOffsetB+0], s[sgprSrdB:sgprSrdB+3], 0, offen offset:3 // load one buffer value
/* g2l=0, load component 4 */
_buffer_load_d16_u8 v[vgprG2LB+0+1], v[vgprGlobalReadOffsetB+0], s[sgprSrdB:sgprSrdB+3], 0, offen offset:4 // load one buffer value
/* g2l=0, load component 5 */
_buffer_load_d16_u8 v47, v[vgprGlobalReadOffsetB+0], s[sgprSrdB:sgprSrdB+3], 0, offen offset:5 // load one buffer value
/* g2l=0, load component 6 */
_buffer_load_d16_hi_u8 v48, v[vgprGlobalReadOffsetB+0], s[sgprSrdB:sgprSrdB+3], 0, offen offset:6 // load one buffer value
/* g2l=0, load component 7 */
_buffer_load_d16_hi_u8 v49, v[vgprGlobalReadOffsetB+0], s[sgprSrdB:sgprSrdB+3], 0, offen offset:7 // load one buffer value
	;; [unrolled: 8-line block ×4, first 2 shown]
s_waitcnt vmcnt(14)
v_lshlrev_b32 v43, 0x8, v43                        // shift left to higher 8 bits
v_or_b32 v[vgprG2LB+0+0], v[vgprG2LB+0+0], v43     // pack a sub 8-bit with dest
s_waitcnt vmcnt(13)
v_or_b32 v[vgprG2LB+0+0], v[vgprG2LB+0+0], v44     // pack a sub 8-bit with dest
s_waitcnt vmcnt(12)
v_lshlrev_b32 v45, 0x8, v45                        // shift left to higher 8 bits
v_or_b32 v[vgprG2LB+0+0], v[vgprG2LB+0+0], v45     // pack a sub 8-bit with dest
s_waitcnt vmcnt(10)
v_lshlrev_b32 v47, 0x8, v47                        // shift left to higher 8 bits
v_or_b32 v[vgprG2LB+0+1], v[vgprG2LB+0+1], v47     // pack a sub 8-bit with dest
s_waitcnt vmcnt(9)
v_or_b32 v[vgprG2LB+0+1], v[vgprG2LB+0+1], v48     // pack a sub 8-bit with dest
s_waitcnt vmcnt(8)
v_lshlrev_b32 v49, 0x8, v49                        // shift left to higher 8 bits
v_or_b32 v[vgprG2LB+0+1], v[vgprG2LB+0+1], v49     // pack a sub 8-bit with dest
	;; [unrolled: 8-line block ×4, first 2 shown]
/* g2l=4, load component 0 */
_buffer_load_d16_u8 v[vgprG2LB+4+0], v[vgprGlobalReadOffsetB+0], s[sgprSrdB:sgprSrdB+3], s[sgprScalarGlobalReadOffsetB+0], offen offset:0 // load one buffer value
/* g2l=4, load component 1 */
_buffer_load_d16_u8 v43, v[vgprGlobalReadOffsetB+0], s[sgprSrdB:sgprSrdB+3], s[sgprScalarGlobalReadOffsetB+0], offen offset:1 // load one buffer value
/* g2l=4, load component 2 */
_buffer_load_d16_hi_u8 v44, v[vgprGlobalReadOffsetB+0], s[sgprSrdB:sgprSrdB+3], s[sgprScalarGlobalReadOffsetB+0], offen offset:2 // load one buffer value
/* g2l=4, load component 3 */
_buffer_load_d16_hi_u8 v45, v[vgprGlobalReadOffsetB+0], s[sgprSrdB:sgprSrdB+3], s[sgprScalarGlobalReadOffsetB+0], offen offset:3 // load one buffer value
/* g2l=4, load component 4 */
_buffer_load_d16_u8 v[vgprG2LB+4+1], v[vgprGlobalReadOffsetB+0], s[sgprSrdB:sgprSrdB+3], s[sgprScalarGlobalReadOffsetB+0], offen offset:4 // load one buffer value
/* g2l=4, load component 5 */
_buffer_load_d16_u8 v47, v[vgprGlobalReadOffsetB+0], s[sgprSrdB:sgprSrdB+3], s[sgprScalarGlobalReadOffsetB+0], offen offset:5 // load one buffer value
/* g2l=4, load component 6 */
_buffer_load_d16_hi_u8 v48, v[vgprGlobalReadOffsetB+0], s[sgprSrdB:sgprSrdB+3], s[sgprScalarGlobalReadOffsetB+0], offen offset:6 // load one buffer value
/* g2l=4, load component 7 */
_buffer_load_d16_hi_u8 v49, v[vgprGlobalReadOffsetB+0], s[sgprSrdB:sgprSrdB+3], s[sgprScalarGlobalReadOffsetB+0], offen offset:7 // load one buffer value
	;; [unrolled: 8-line block ×4, first 2 shown]
s_waitcnt vmcnt(14)
v_lshlrev_b32 v43, 0x8, v43                        // shift left to higher 8 bits
v_or_b32 v[vgprG2LB+4+0], v[vgprG2LB+4+0], v43     // pack a sub 8-bit with dest
s_waitcnt vmcnt(13)
v_or_b32 v[vgprG2LB+4+0], v[vgprG2LB+4+0], v44     // pack a sub 8-bit with dest
s_waitcnt vmcnt(12)
v_lshlrev_b32 v45, 0x8, v45                        // shift left to higher 8 bits
v_or_b32 v[vgprG2LB+4+0], v[vgprG2LB+4+0], v45     // pack a sub 8-bit with dest
s_waitcnt vmcnt(10)
v_lshlrev_b32 v47, 0x8, v47                        // shift left to higher 8 bits
v_or_b32 v[vgprG2LB+4+1], v[vgprG2LB+4+1], v47     // pack a sub 8-bit with dest
s_waitcnt vmcnt(9)
v_or_b32 v[vgprG2LB+4+1], v[vgprG2LB+4+1], v48     // pack a sub 8-bit with dest
s_waitcnt vmcnt(8)
v_lshlrev_b32 v49, 0x8, v49                        // shift left to higher 8 bits
v_or_b32 v[vgprG2LB+4+1], v[vgprG2LB+4+1], v49     // pack a sub 8-bit with dest
	;; [unrolled: 8-line block ×4, first 2 shown]

s_waitcnt vmcnt(0)                                 // lgkmcnt=-1 vmcnt=02wait for global read

// Skip force waitcnt0
s_barrier //


/* Done global A/B reads */


	;; [unrolled: 1-line block ×4, first 2 shown]
/* local write a */

_ds_store_b128 v[vgprLocalWriteAddrA], v[vgprG2LA+0:vgprG2LA+0+3] offset:0 // lwoA_0_0_0_0 = (0*LSCA)*(MT0I+PAD) + (0*LSPA) = 0


/* local write b */

_ds_store_b128 v[vgprLocalWriteAddrB], v[vgprG2LB+0:vgprG2LB+0+3] offset:0 // lwoB_0_0_0_0 = (0*LSCB)*(MT1J+PAD) + (0*LSPB) = 0
_ds_store_b128 v[vgprLocalWriteAddrB], v[vgprG2LB+4:vgprG2LB+4+3] offset:1152 // lwoB_0_0_1_0 = (0*LSCB)*(MT1J+PAD) + (1*LSPB) = 1152


/* Recalc local read offsets */

v_mov_b32 v43, v[vgprLocalReadAddrA]               // back up LRA for persistent kernel + wider local read
v_mov_b32 v44, v[vgprLocalReadAddrB]               // back up LRA for persistent kernel + wider local read
/*lr0I*/
v_and_b32 v46, 63, v[vgprSerial]                   // 0. thread id in wave: wtid = tid % wavelength(64)
v_and_b32 v45, 31, v46                             // 1. N offset: nIdx = wtid % MI_N(32)
v_lshlrev_b32 v45, 0x6, v45                        // 1. N offset: nOffset = nIdx * nStride(64)
                                                   // 2. block offset: bnIdx = bnIdx % num1DBlocks(1) is 0. do nothing
                                                   // 4. apply VectorWidth: bnOffset = bnOffset * vw(1) (multiplier is 1, do nothing)
v_lshrrev_b32 v46, 5, v46                          // 5. K offset: kIdx = wtid / (MIN(32) * MIBB(1))
v_lshlrev_b32 v46, 0x2, v46                        // 5. K offset: lrKOffset = kIdx * mStride(4)
_v_add_u32 v45, v46, v45                           // 6. offset in wave: lrOffset = bnOffset + lrKOffset
v_lshrrev_b32 v47, 6, v[vgprSerial]                // 7. wave offset in N dimen: wtid = tid / dividedForWaveId(64)
v_and_b32 v46, 1, v47                              // 7. wave offset in M dimen: wtid0 = wtid / num1DWaves(2)
v_lshlrev_b32 v46, 0xb, v46                        // 7. wave offset in M dimen: wOffset = wtid0 * W0Stride(2048)
_v_add_u32 v45, v46, v45                           // 8. final local read offset: flrOffset = lrOffset + WOffset
/*lr1J*/
v_and_b32 v47, 63, v[vgprSerial]                   // 0. thread id in wave: wtid = tid % wavelength(64)
v_and_b32 v46, 31, v47                             // 1. N offset: nIdx = wtid % MI_N(32)
v_lshlrev_b32 v46, 0x6, v46                        // 1. N offset: nOffset = nIdx * nStride(64)
                                                   // 2. block offset: bnIdx = bnIdx % num1DBlocks(1) is 0. do nothing
                                                   // 4. apply VectorWidth: bnOffset = bnOffset * vw(1) (multiplier is 1, do nothing)
v_lshrrev_b32 v47, 5, v47                          // 5. K offset: kIdx = wtid / (MIN(32) * MIBB(1))
v_lshlrev_b32 v47, 0x2, v47                        // 5. K offset: lrKOffset = kIdx * mStride(4)
_v_add_u32 v46, v47, v46                           // 6. offset in wave: lrOffset = bnOffset + lrKOffset
v_lshrrev_b32 v48, 7, v[vgprSerial]                // 7. wave offset in N dimen: wtid = tid / dividedForWaveId(128)
v_and_b32 v47, 1, v48                              // 7. wave offset in M dimen: wtid0 = wtid / num1DWaves(2)
v_lshlrev_b32 v47, 0xb, v47                        // 7. wave offset in M dimen: wOffset = wtid0 * W0Stride(2048)
_v_add_u32 v46, v47, v46                           // 8. final local read offset: flrOffset = lrOffset + WOffset
v_lshlrev_b32 v[vgprLocalReadAddrA], 0x0, v45      // Final Offset: offset = (lro0)*bpe
v_lshrrev_b32 v45, 7, v[vgprLocalReadAddrA]        // Final Offset: padding 16 per block 128
v_lshlrev_b32 v45, 0x4, v45                        // Final Offset: padding 16 per block 128
_v_add_u32 v[vgprLocalReadAddrA], v45, v[vgprLocalReadAddrA] // Final Offset: add padding 16 per block 128
/* N/A */
v_lshlrev_b32 v[vgprLocalReadAddrB], 0x0, v46      // Final Offset: offset = (lro1)*bpe
v_lshrrev_b32 v45, 7, v[vgprLocalReadAddrB]        // Final Offset: padding 16 per block 128
v_lshlrev_b32 v45, 0x4, v45                        // Final Offset: padding 16 per block 128
_v_add_u32 v[vgprLocalReadAddrB], v45, v[vgprLocalReadAddrB] // Final Offset: add padding 16 per block 128
_v_add_co_u32 v[vgprLocalReadAddrB+0], vcc, 0x1200, v[vgprLocalReadAddrB+0] //  += LdsOffsetB (lower)

s_waitcnt lgkmcnt(0)                               // lgkmcnt=0 vmcnt=-15wait for local write

// Skip force waitcnt0
s_barrier //


/* local read reset offsets a */


/* localReadResetOffsets */
/* handled internally */
v_and_b32 v[vgprLocalReadAddrA], 0x3fff, v[vgprLocalReadAddrA] // reset Red,Blk -> Red


/* local read reset offsets b */


/* localReadResetOffsets */
/* handled internally */
v_and_b32 v[vgprLocalReadAddrB], 0x3fff, v[vgprLocalReadAddrB] // reset Red,Blk -> Red


/* local read init pointers a */


/* localReadInitPointers */


/* local read init pointers b */


/* localReadInitPointers */


/* tail loop: macs */

TailLoopBeginL_6:


/* tail loop unroll iter 0 */


/* local read a */

_ds_load_b32 v[vgprValuA_X0_I0+0], v[vgprLocalReadAddrA] offset:0 // L -> Reg lro=0 swapByteOffset=0 ti=64 vIdx=0 rIdx=0 oIdx=0 buffer=0 iui=0


/* local read b */

_ds_load_b32 v[vgprValuB_X0_I0+0], v[vgprLocalReadAddrB] offset:0 // L -> Reg lro=0 swapByteOffset=0 ti=64 vIdx=0 rIdx=0 oIdx=0 buffer=0 iui=0
_ds_load_b32 v[vgprValuB_X0_I0+1], v[vgprLocalReadAddrB] offset:4608 // L -> Reg lro=0 swapByteOffset=0 ti=64 vIdx=1 rIdx=0 oIdx=0 buffer=0 iui=0


/* local read inc a */

s_mov_b32 s75, 0x8                                 // inc
_v_add_co_u32 v[vgprLocalReadAddrA], vcc, s75, v[vgprLocalReadAddrA] // lrA += 8 (LSU*bpe)


/* local read inc b */

s_mov_b32 s75, 0x8                                 // inc
_v_add_co_u32 v[vgprLocalReadAddrB], vcc, s75, v[vgprLocalReadAddrB] // lrB += 8 (LSU*bpe)

s_waitcnt lgkmcnt(0)                               // lgkmcnt=0 vmcnt=-14wait for local read


	;; [unrolled: 1-line block ×3, first 2 shown]
/* tail loop mfma iter 0: numReadsIterCoalescedA=1, numReadsIterCoalescedB=1 */
v_and_b32 v45, 63, v[vgprSerial]                   // v45 = v[vgprSerial] % 64
v_lshrrev_b32 v45, 5, v45                          // v45 = v45 / 32
v_lshlrev_b32 v45, 0x2, v45                        // v45 = v45 * 4
v_cmp_ge_i32 s[76:77], v45, s[sgprTailLoopCounter] // check K index >= Size L
v_cndmask_b32 v[vgprValuA_X0_I0+0+0+0+0], v[vgprValuA_X0_I0+0+0+0+0], 0x0, s[76:77] // set 0 if K_idx >= sizeL
v_cndmask_b32 v[vgprValuB_X0_I0+0+0+0+0], v[vgprValuB_X0_I0+0+0+0+0], 0x0, s[76:77] // set 0 if K_idx >= sizeL
v_cndmask_b32 v[vgprValuB_X0_I0+1+0+0+0], v[vgprValuB_X0_I0+1+0+0+0], 0x0, s[76:77] // set 0 if K_idx >= sizeL
_v_sub_u32 v45, s[sgprTailLoopCounter], v45        // get distance between size and k index
v_cmp_lt_i32 s[76:77], v45, 4                      // set partial 0 if distance less than input per thread
s_and_b32 s78, s[sgprTailLoopCounter], 3           // get inputs for edge thread
s_sub_u32 s78, 4, s78                              // use shift to fill 0 for outside element
s_lshl_b32 s78, s78, 3                             // use shift to fill 0 for outside element
v_mov_b32 v46, -1                                  // set 0xffffffff
v_lshrrev_b32 v46, s78, v46                        // rshift mask for partial k
v_cndmask_b32 v46, -1, v46, s[76:77]               // select shifted mask for partial k
v_and_b32 v[vgprValuA_X0_I0+0+0+0+0], v[vgprValuA_X0_I0+0+0+0+0], v46 // 
v_and_b32 v[vgprValuB_X0_I0+0+0+0+0], v[vgprValuB_X0_I0+0+0+0+0], v46 // 
v_and_b32 v[vgprValuB_X0_I0+1+0+0+0], v[vgprValuB_X0_I0+1+0+0+0], v46 // 
s_nop 1
v_mfma_i32_32x32x8i8 a[0+0:15+0], v[vgprValuA_X0_I0+0+0+0], v[vgprValuB_X0_I0+0+0+0], a[0:15]
v_mfma_i32_32x32x8i8 a[16+0:31+0], v[vgprValuA_X0_I0+0+0+0], v[vgprValuB_X0_I0+1+0+0], a[16:31]


/* closeLoop loopL finalLoop=0 tailLoop=1 */
s_sub_i32 s[sgprTailLoopCounter], s[sgprTailLoopCounter], 0x8 // dec counterL (tailLoop)
s_add_u32 s[sgprOrigLoopCounter], s[sgprOrigLoopCounter], 0x8 // inc counterL
s_cmp_le_i32 s[sgprTailLoopCounter], 0x0           // counterL<=0
s_cbranch_scc1 TailLoopEndL_7                      // exit LoopL


/* tail loop unroll iter 1 */


/* local read a */

_ds_load_b32 v[vgprValuA_X1_I0+0], v[vgprLocalReadAddrA] offset:0 // L -> Reg lro=0 swapByteOffset=0 ti=64 vIdx=0 rIdx=0 oIdx=0 buffer=1 iui=0


/* local read b */

_ds_load_b32 v[vgprValuB_X1_I0+0], v[vgprLocalReadAddrB] offset:0 // L -> Reg lro=0 swapByteOffset=0 ti=64 vIdx=0 rIdx=0 oIdx=0 buffer=1 iui=0
_ds_load_b32 v[vgprValuB_X1_I0+1], v[vgprLocalReadAddrB] offset:4608 // L -> Reg lro=0 swapByteOffset=0 ti=64 vIdx=1 rIdx=0 oIdx=0 buffer=1 iui=0


/* local read inc a */

s_mov_b32 s75, 0x8                                 // inc
_v_add_co_u32 v[vgprLocalReadAddrA], vcc, s75, v[vgprLocalReadAddrA] // lrA += 8 (LSU*bpe)


/* local read inc b */

s_mov_b32 s75, 0x8                                 // inc
_v_add_co_u32 v[vgprLocalReadAddrB], vcc, s75, v[vgprLocalReadAddrB] // lrB += 8 (LSU*bpe)

s_waitcnt lgkmcnt(0)                               // lgkmcnt=0 vmcnt=-14wait for local read


	;; [unrolled: 1-line block ×3, first 2 shown]
/* tail loop mfma iter 1: numReadsIterCoalescedA=1, numReadsIterCoalescedB=1 */
v_and_b32 v45, 63, v[vgprSerial]                   // v45 = v[vgprSerial] % 64
v_lshrrev_b32 v45, 5, v45                          // v45 = v45 / 32
v_lshlrev_b32 v45, 0x2, v45                        // v45 = v45 * 4
v_cmp_ge_i32 s[76:77], v45, s[sgprTailLoopCounter] // check K index >= Size L
v_cndmask_b32 v[vgprValuA_X1_I0+0+0+0+0], v[vgprValuA_X1_I0+0+0+0+0], 0x0, s[76:77] // set 0 if K_idx >= sizeL
v_cndmask_b32 v[vgprValuB_X1_I0+0+0+0+0], v[vgprValuB_X1_I0+0+0+0+0], 0x0, s[76:77] // set 0 if K_idx >= sizeL
v_cndmask_b32 v[vgprValuB_X1_I0+1+0+0+0], v[vgprValuB_X1_I0+1+0+0+0], 0x0, s[76:77] // set 0 if K_idx >= sizeL
_v_sub_u32 v45, s[sgprTailLoopCounter], v45        // get distance between size and k index
v_cmp_lt_i32 s[76:77], v45, 4                      // set partial 0 if distance less than input per thread
s_and_b32 s78, s[sgprTailLoopCounter], 3           // get inputs for edge thread
s_sub_u32 s78, 4, s78                              // use shift to fill 0 for outside element
s_lshl_b32 s78, s78, 3                             // use shift to fill 0 for outside element
v_mov_b32 v46, -1                                  // set 0xffffffff
v_lshrrev_b32 v46, s78, v46                        // rshift mask for partial k
v_cndmask_b32 v46, -1, v46, s[76:77]               // select shifted mask for partial k
v_and_b32 v[vgprValuA_X1_I0+0+0+0+0], v[vgprValuA_X1_I0+0+0+0+0], v46 // 
v_and_b32 v[vgprValuB_X1_I0+0+0+0+0], v[vgprValuB_X1_I0+0+0+0+0], v46 // 
v_and_b32 v[vgprValuB_X1_I0+1+0+0+0], v[vgprValuB_X1_I0+1+0+0+0], v46 // 
s_nop 1
v_mfma_i32_32x32x8i8 a[0+0:15+0], v[vgprValuA_X1_I0+0+0+0], v[vgprValuB_X1_I0+0+0+0], a[0:15]
v_mfma_i32_32x32x8i8 a[16+0:31+0], v[vgprValuA_X1_I0+0+0+0], v[vgprValuB_X1_I0+1+0+0], a[16:31]


/* closeLoop loopL finalLoop=0 tailLoop=1 */
s_sub_i32 s[sgprTailLoopCounter], s[sgprTailLoopCounter], 0x8 // dec counterL (tailLoop)
s_add_u32 s[sgprOrigLoopCounter], s[sgprOrigLoopCounter], 0x8 // inc counterL
s_cmp_le_i32 s[sgprTailLoopCounter], 0x0           // counterL<=0
s_cbranch_scc1 TailLoopEndL_7                      // exit LoopL


/* tail loop unroll iter 2 */


/* local read a */

_ds_load_b32 v[vgprValuA_X2_I0+0], v[vgprLocalReadAddrA] offset:0 // L -> Reg lro=0 swapByteOffset=0 ti=64 vIdx=0 rIdx=0 oIdx=0 buffer=2 iui=0


/* local read b */

_ds_load_b32 v[vgprValuB_X2_I0+0], v[vgprLocalReadAddrB] offset:0 // L -> Reg lro=0 swapByteOffset=0 ti=64 vIdx=0 rIdx=0 oIdx=0 buffer=2 iui=0
_ds_load_b32 v[vgprValuB_X2_I0+1], v[vgprLocalReadAddrB] offset:4608 // L -> Reg lro=0 swapByteOffset=0 ti=64 vIdx=1 rIdx=0 oIdx=0 buffer=2 iui=0


/* local read inc a */

s_mov_b32 s75, 0x8                                 // inc
_v_add_co_u32 v[vgprLocalReadAddrA], vcc, s75, v[vgprLocalReadAddrA] // lrA += 8 (LSU*bpe)


/* local read inc b */

s_mov_b32 s75, 0x8                                 // inc
_v_add_co_u32 v[vgprLocalReadAddrB], vcc, s75, v[vgprLocalReadAddrB] // lrB += 8 (LSU*bpe)

s_waitcnt lgkmcnt(0)                               // lgkmcnt=0 vmcnt=-14wait for local read


	;; [unrolled: 1-line block ×3, first 2 shown]
/* tail loop mfma iter 2: numReadsIterCoalescedA=1, numReadsIterCoalescedB=1 */
v_and_b32 v45, 63, v[vgprSerial]                   // v45 = v[vgprSerial] % 64
v_lshrrev_b32 v45, 5, v45                          // v45 = v45 / 32
v_lshlrev_b32 v45, 0x2, v45                        // v45 = v45 * 4
v_cmp_ge_i32 s[76:77], v45, s[sgprTailLoopCounter] // check K index >= Size L
v_cndmask_b32 v[vgprValuA_X2_I0+0+0+0+0], v[vgprValuA_X2_I0+0+0+0+0], 0x0, s[76:77] // set 0 if K_idx >= sizeL
v_cndmask_b32 v[vgprValuB_X2_I0+0+0+0+0], v[vgprValuB_X2_I0+0+0+0+0], 0x0, s[76:77] // set 0 if K_idx >= sizeL
v_cndmask_b32 v[vgprValuB_X2_I0+1+0+0+0], v[vgprValuB_X2_I0+1+0+0+0], 0x0, s[76:77] // set 0 if K_idx >= sizeL
_v_sub_u32 v45, s[sgprTailLoopCounter], v45        // get distance between size and k index
v_cmp_lt_i32 s[76:77], v45, 4                      // set partial 0 if distance less than input per thread
s_and_b32 s78, s[sgprTailLoopCounter], 3           // get inputs for edge thread
s_sub_u32 s78, 4, s78                              // use shift to fill 0 for outside element
s_lshl_b32 s78, s78, 3                             // use shift to fill 0 for outside element
v_mov_b32 v46, -1                                  // set 0xffffffff
v_lshrrev_b32 v46, s78, v46                        // rshift mask for partial k
v_cndmask_b32 v46, -1, v46, s[76:77]               // select shifted mask for partial k
v_and_b32 v[vgprValuA_X2_I0+0+0+0+0], v[vgprValuA_X2_I0+0+0+0+0], v46 // 
v_and_b32 v[vgprValuB_X2_I0+0+0+0+0], v[vgprValuB_X2_I0+0+0+0+0], v46 // 
v_and_b32 v[vgprValuB_X2_I0+1+0+0+0], v[vgprValuB_X2_I0+1+0+0+0], v46 // 
s_nop 1
v_mfma_i32_32x32x8i8 a[0+0:15+0], v[vgprValuA_X2_I0+0+0+0], v[vgprValuB_X2_I0+0+0+0], a[0:15]
v_mfma_i32_32x32x8i8 a[16+0:31+0], v[vgprValuA_X2_I0+0+0+0], v[vgprValuB_X2_I0+1+0+0], a[16:31]


/* closeLoop loopL finalLoop=0 tailLoop=1 */
s_sub_i32 s[sgprTailLoopCounter], s[sgprTailLoopCounter], 0x8 // dec counterL (tailLoop)
s_add_u32 s[sgprOrigLoopCounter], s[sgprOrigLoopCounter], 0x8 // inc counterL
s_cmp_le_i32 s[sgprTailLoopCounter], 0x0           // counterL<=0
s_cbranch_scc1 TailLoopEndL_7                      // exit LoopL


/* tail loop unroll iter 3 */


/* local read a */

_ds_load_b32 v[vgprValuA_X3_I0+0], v[vgprLocalReadAddrA] offset:0 // L -> Reg lro=0 swapByteOffset=0 ti=64 vIdx=0 rIdx=0 oIdx=0 buffer=3 iui=0


/* local read b */

_ds_load_b32 v[vgprValuB_X3_I0+0], v[vgprLocalReadAddrB] offset:0 // L -> Reg lro=0 swapByteOffset=0 ti=64 vIdx=0 rIdx=0 oIdx=0 buffer=3 iui=0
_ds_load_b32 v[vgprValuB_X3_I0+1], v[vgprLocalReadAddrB] offset:4608 // L -> Reg lro=0 swapByteOffset=0 ti=64 vIdx=1 rIdx=0 oIdx=0 buffer=3 iui=0


/* local read inc a */

s_mov_b32 s75, 0x8                                 // inc
_v_add_co_u32 v[vgprLocalReadAddrA], vcc, s75, v[vgprLocalReadAddrA] // lrA += 8 (LSU*bpe)


/* local read inc b */

s_mov_b32 s75, 0x8                                 // inc
_v_add_co_u32 v[vgprLocalReadAddrB], vcc, s75, v[vgprLocalReadAddrB] // lrB += 8 (LSU*bpe)

s_waitcnt lgkmcnt(0)                               // lgkmcnt=0 vmcnt=-14wait for local read


	;; [unrolled: 1-line block ×3, first 2 shown]
/* tail loop mfma iter 3: numReadsIterCoalescedA=1, numReadsIterCoalescedB=1 */
v_and_b32 v45, 63, v[vgprSerial]                   // v45 = v[vgprSerial] % 64
v_lshrrev_b32 v45, 5, v45                          // v45 = v45 / 32
v_lshlrev_b32 v45, 0x2, v45                        // v45 = v45 * 4
v_cmp_ge_i32 s[76:77], v45, s[sgprTailLoopCounter] // check K index >= Size L
v_cndmask_b32 v[vgprValuA_X3_I0+0+0+0+0], v[vgprValuA_X3_I0+0+0+0+0], 0x0, s[76:77] // set 0 if K_idx >= sizeL
v_cndmask_b32 v[vgprValuB_X3_I0+0+0+0+0], v[vgprValuB_X3_I0+0+0+0+0], 0x0, s[76:77] // set 0 if K_idx >= sizeL
v_cndmask_b32 v[vgprValuB_X3_I0+1+0+0+0], v[vgprValuB_X3_I0+1+0+0+0], 0x0, s[76:77] // set 0 if K_idx >= sizeL
_v_sub_u32 v45, s[sgprTailLoopCounter], v45        // get distance between size and k index
v_cmp_lt_i32 s[76:77], v45, 4                      // set partial 0 if distance less than input per thread
s_and_b32 s78, s[sgprTailLoopCounter], 3           // get inputs for edge thread
s_sub_u32 s78, 4, s78                              // use shift to fill 0 for outside element
s_lshl_b32 s78, s78, 3                             // use shift to fill 0 for outside element
v_mov_b32 v46, -1                                  // set 0xffffffff
v_lshrrev_b32 v46, s78, v46                        // rshift mask for partial k
v_cndmask_b32 v46, -1, v46, s[76:77]               // select shifted mask for partial k
v_and_b32 v[vgprValuA_X3_I0+0+0+0+0], v[vgprValuA_X3_I0+0+0+0+0], v46 // 
v_and_b32 v[vgprValuB_X3_I0+0+0+0+0], v[vgprValuB_X3_I0+0+0+0+0], v46 // 
v_and_b32 v[vgprValuB_X3_I0+1+0+0+0], v[vgprValuB_X3_I0+1+0+0+0], v46 // 
s_nop 1
v_mfma_i32_32x32x8i8 a[0+0:15+0], v[vgprValuA_X3_I0+0+0+0], v[vgprValuB_X3_I0+0+0+0], a[0:15]
v_mfma_i32_32x32x8i8 a[16+0:31+0], v[vgprValuA_X3_I0+0+0+0], v[vgprValuB_X3_I0+1+0+0], a[16:31]


/* closeLoop loopL finalLoop=0 tailLoop=1 */
s_sub_i32 s[sgprTailLoopCounter], s[sgprTailLoopCounter], 0x8 // dec counterL (tailLoop)
s_add_u32 s[sgprOrigLoopCounter], s[sgprOrigLoopCounter], 0x8 // inc counterL
s_cmp_le_i32 s[sgprTailLoopCounter], 0x0           // counterL<=0
s_cbranch_scc1 TailLoopEndL_7                      // exit LoopL


/* tail loop unroll iter 4 */


/* local read a */

_ds_load_b32 v[vgprValuA_X4_I0+0], v[vgprLocalReadAddrA] offset:0 // L -> Reg lro=0 swapByteOffset=0 ti=64 vIdx=0 rIdx=0 oIdx=0 buffer=4 iui=0


/* local read b */

_ds_load_b32 v[vgprValuB_X4_I0+0], v[vgprLocalReadAddrB] offset:0 // L -> Reg lro=0 swapByteOffset=0 ti=64 vIdx=0 rIdx=0 oIdx=0 buffer=4 iui=0
_ds_load_b32 v[vgprValuB_X4_I0+1], v[vgprLocalReadAddrB] offset:4608 // L -> Reg lro=0 swapByteOffset=0 ti=64 vIdx=1 rIdx=0 oIdx=0 buffer=4 iui=0


/* local read inc a */

s_mov_b32 s75, 0x8                                 // inc
_v_add_co_u32 v[vgprLocalReadAddrA], vcc, s75, v[vgprLocalReadAddrA] // lrA += 8 (LSU*bpe)


/* local read inc b */

s_mov_b32 s75, 0x8                                 // inc
_v_add_co_u32 v[vgprLocalReadAddrB], vcc, s75, v[vgprLocalReadAddrB] // lrB += 8 (LSU*bpe)

s_waitcnt lgkmcnt(0)                               // lgkmcnt=0 vmcnt=-14wait for local read


	;; [unrolled: 1-line block ×3, first 2 shown]
/* tail loop mfma iter 4: numReadsIterCoalescedA=1, numReadsIterCoalescedB=1 */
v_and_b32 v45, 63, v[vgprSerial]                   // v45 = v[vgprSerial] % 64
v_lshrrev_b32 v45, 5, v45                          // v45 = v45 / 32
v_lshlrev_b32 v45, 0x2, v45                        // v45 = v45 * 4
v_cmp_ge_i32 s[76:77], v45, s[sgprTailLoopCounter] // check K index >= Size L
v_cndmask_b32 v[vgprValuA_X4_I0+0+0+0+0], v[vgprValuA_X4_I0+0+0+0+0], 0x0, s[76:77] // set 0 if K_idx >= sizeL
v_cndmask_b32 v[vgprValuB_X4_I0+0+0+0+0], v[vgprValuB_X4_I0+0+0+0+0], 0x0, s[76:77] // set 0 if K_idx >= sizeL
v_cndmask_b32 v[vgprValuB_X4_I0+1+0+0+0], v[vgprValuB_X4_I0+1+0+0+0], 0x0, s[76:77] // set 0 if K_idx >= sizeL
_v_sub_u32 v45, s[sgprTailLoopCounter], v45        // get distance between size and k index
v_cmp_lt_i32 s[76:77], v45, 4                      // set partial 0 if distance less than input per thread
s_and_b32 s78, s[sgprTailLoopCounter], 3           // get inputs for edge thread
s_sub_u32 s78, 4, s78                              // use shift to fill 0 for outside element
s_lshl_b32 s78, s78, 3                             // use shift to fill 0 for outside element
v_mov_b32 v46, -1                                  // set 0xffffffff
v_lshrrev_b32 v46, s78, v46                        // rshift mask for partial k
v_cndmask_b32 v46, -1, v46, s[76:77]               // select shifted mask for partial k
v_and_b32 v[vgprValuA_X4_I0+0+0+0+0], v[vgprValuA_X4_I0+0+0+0+0], v46 // 
v_and_b32 v[vgprValuB_X4_I0+0+0+0+0], v[vgprValuB_X4_I0+0+0+0+0], v46 // 
v_and_b32 v[vgprValuB_X4_I0+1+0+0+0], v[vgprValuB_X4_I0+1+0+0+0], v46 // 
s_nop 1
v_mfma_i32_32x32x8i8 a[0+0:15+0], v[vgprValuA_X4_I0+0+0+0], v[vgprValuB_X4_I0+0+0+0], a[0:15]
v_mfma_i32_32x32x8i8 a[16+0:31+0], v[vgprValuA_X4_I0+0+0+0], v[vgprValuB_X4_I0+1+0+0], a[16:31]


/* closeLoop loopL finalLoop=0 tailLoop=1 */
s_sub_i32 s[sgprTailLoopCounter], s[sgprTailLoopCounter], 0x8 // dec counterL (tailLoop)
s_add_u32 s[sgprOrigLoopCounter], s[sgprOrigLoopCounter], 0x8 // inc counterL
s_cmp_le_i32 s[sgprTailLoopCounter], 0x0           // counterL<=0
s_cbranch_scc1 TailLoopEndL_7                      // exit LoopL


/* tail loop unroll iter 5 */


/* local read a */

_ds_load_b32 v[vgprValuA_X5_I0+0], v[vgprLocalReadAddrA] offset:0 // L -> Reg lro=0 swapByteOffset=0 ti=64 vIdx=0 rIdx=0 oIdx=0 buffer=5 iui=0


/* local read b */

_ds_load_b32 v[vgprValuB_X5_I0+0], v[vgprLocalReadAddrB] offset:0 // L -> Reg lro=0 swapByteOffset=0 ti=64 vIdx=0 rIdx=0 oIdx=0 buffer=5 iui=0
_ds_load_b32 v[vgprValuB_X5_I0+1], v[vgprLocalReadAddrB] offset:4608 // L -> Reg lro=0 swapByteOffset=0 ti=64 vIdx=1 rIdx=0 oIdx=0 buffer=5 iui=0


/* local read inc a */

s_mov_b32 s75, 0x8                                 // inc
_v_add_co_u32 v[vgprLocalReadAddrA], vcc, s75, v[vgprLocalReadAddrA] // lrA += 8 (LSU*bpe)


/* local read inc b */

s_mov_b32 s75, 0x8                                 // inc
_v_add_co_u32 v[vgprLocalReadAddrB], vcc, s75, v[vgprLocalReadAddrB] // lrB += 8 (LSU*bpe)

s_waitcnt lgkmcnt(0)                               // lgkmcnt=0 vmcnt=-14wait for local read


	;; [unrolled: 1-line block ×3, first 2 shown]
/* tail loop mfma iter 5: numReadsIterCoalescedA=1, numReadsIterCoalescedB=1 */
v_and_b32 v45, 63, v[vgprSerial]                   // v45 = v[vgprSerial] % 64
v_lshrrev_b32 v45, 5, v45                          // v45 = v45 / 32
v_lshlrev_b32 v45, 0x2, v45                        // v45 = v45 * 4
v_cmp_ge_i32 s[76:77], v45, s[sgprTailLoopCounter] // check K index >= Size L
v_cndmask_b32 v[vgprValuA_X5_I0+0+0+0+0], v[vgprValuA_X5_I0+0+0+0+0], 0x0, s[76:77] // set 0 if K_idx >= sizeL
v_cndmask_b32 v[vgprValuB_X5_I0+0+0+0+0], v[vgprValuB_X5_I0+0+0+0+0], 0x0, s[76:77] // set 0 if K_idx >= sizeL
v_cndmask_b32 v[vgprValuB_X5_I0+1+0+0+0], v[vgprValuB_X5_I0+1+0+0+0], 0x0, s[76:77] // set 0 if K_idx >= sizeL
_v_sub_u32 v45, s[sgprTailLoopCounter], v45        // get distance between size and k index
v_cmp_lt_i32 s[76:77], v45, 4                      // set partial 0 if distance less than input per thread
s_and_b32 s78, s[sgprTailLoopCounter], 3           // get inputs for edge thread
s_sub_u32 s78, 4, s78                              // use shift to fill 0 for outside element
s_lshl_b32 s78, s78, 3                             // use shift to fill 0 for outside element
v_mov_b32 v46, -1                                  // set 0xffffffff
v_lshrrev_b32 v46, s78, v46                        // rshift mask for partial k
v_cndmask_b32 v46, -1, v46, s[76:77]               // select shifted mask for partial k
v_and_b32 v[vgprValuA_X5_I0+0+0+0+0], v[vgprValuA_X5_I0+0+0+0+0], v46 // 
v_and_b32 v[vgprValuB_X5_I0+0+0+0+0], v[vgprValuB_X5_I0+0+0+0+0], v46 // 
v_and_b32 v[vgprValuB_X5_I0+1+0+0+0], v[vgprValuB_X5_I0+1+0+0+0], v46 // 
s_nop 1
v_mfma_i32_32x32x8i8 a[0+0:15+0], v[vgprValuA_X5_I0+0+0+0], v[vgprValuB_X5_I0+0+0+0], a[0:15]
v_mfma_i32_32x32x8i8 a[16+0:31+0], v[vgprValuA_X5_I0+0+0+0], v[vgprValuB_X5_I0+1+0+0], a[16:31]


/* closeLoop loopL finalLoop=0 tailLoop=1 */
s_sub_i32 s[sgprTailLoopCounter], s[sgprTailLoopCounter], 0x8 // dec counterL (tailLoop)
s_add_u32 s[sgprOrigLoopCounter], s[sgprOrigLoopCounter], 0x8 // inc counterL
s_cmp_le_i32 s[sgprTailLoopCounter], 0x0           // counterL<=0
s_cbranch_scc1 TailLoopEndL_7                      // exit LoopL


/* tail loop unroll iter 6 */


/* local read a */

_ds_load_b32 v[vgprValuA_X6_I0+0], v[vgprLocalReadAddrA] offset:0 // L -> Reg lro=0 swapByteOffset=0 ti=64 vIdx=0 rIdx=0 oIdx=0 buffer=6 iui=0


/* local read b */

_ds_load_b32 v[vgprValuB_X6_I0+0], v[vgprLocalReadAddrB] offset:0 // L -> Reg lro=0 swapByteOffset=0 ti=64 vIdx=0 rIdx=0 oIdx=0 buffer=6 iui=0
_ds_load_b32 v[vgprValuB_X6_I0+1], v[vgprLocalReadAddrB] offset:4608 // L -> Reg lro=0 swapByteOffset=0 ti=64 vIdx=1 rIdx=0 oIdx=0 buffer=6 iui=0


/* local read inc a */

s_mov_b32 s75, 0x8                                 // inc
_v_add_co_u32 v[vgprLocalReadAddrA], vcc, s75, v[vgprLocalReadAddrA] // lrA += 8 (LSU*bpe)


/* local read inc b */

s_mov_b32 s75, 0x8                                 // inc
_v_add_co_u32 v[vgprLocalReadAddrB], vcc, s75, v[vgprLocalReadAddrB] // lrB += 8 (LSU*bpe)

s_waitcnt lgkmcnt(0)                               // lgkmcnt=0 vmcnt=-14wait for local read


	;; [unrolled: 1-line block ×3, first 2 shown]
/* tail loop mfma iter 6: numReadsIterCoalescedA=1, numReadsIterCoalescedB=1 */
v_and_b32 v45, 63, v[vgprSerial]                   // v45 = v[vgprSerial] % 64
v_lshrrev_b32 v45, 5, v45                          // v45 = v45 / 32
v_lshlrev_b32 v45, 0x2, v45                        // v45 = v45 * 4
v_cmp_ge_i32 s[76:77], v45, s[sgprTailLoopCounter] // check K index >= Size L
v_cndmask_b32 v[vgprValuA_X6_I0+0+0+0+0], v[vgprValuA_X6_I0+0+0+0+0], 0x0, s[76:77] // set 0 if K_idx >= sizeL
v_cndmask_b32 v[vgprValuB_X6_I0+0+0+0+0], v[vgprValuB_X6_I0+0+0+0+0], 0x0, s[76:77] // set 0 if K_idx >= sizeL
v_cndmask_b32 v[vgprValuB_X6_I0+1+0+0+0], v[vgprValuB_X6_I0+1+0+0+0], 0x0, s[76:77] // set 0 if K_idx >= sizeL
_v_sub_u32 v45, s[sgprTailLoopCounter], v45        // get distance between size and k index
v_cmp_lt_i32 s[76:77], v45, 4                      // set partial 0 if distance less than input per thread
s_and_b32 s78, s[sgprTailLoopCounter], 3           // get inputs for edge thread
s_sub_u32 s78, 4, s78                              // use shift to fill 0 for outside element
s_lshl_b32 s78, s78, 3                             // use shift to fill 0 for outside element
v_mov_b32 v46, -1                                  // set 0xffffffff
v_lshrrev_b32 v46, s78, v46                        // rshift mask for partial k
v_cndmask_b32 v46, -1, v46, s[76:77]               // select shifted mask for partial k
v_and_b32 v[vgprValuA_X6_I0+0+0+0+0], v[vgprValuA_X6_I0+0+0+0+0], v46 // 
v_and_b32 v[vgprValuB_X6_I0+0+0+0+0], v[vgprValuB_X6_I0+0+0+0+0], v46 // 
v_and_b32 v[vgprValuB_X6_I0+1+0+0+0], v[vgprValuB_X6_I0+1+0+0+0], v46 // 
s_nop 1
v_mfma_i32_32x32x8i8 a[0+0:15+0], v[vgprValuA_X6_I0+0+0+0], v[vgprValuB_X6_I0+0+0+0], a[0:15]
v_mfma_i32_32x32x8i8 a[16+0:31+0], v[vgprValuA_X6_I0+0+0+0], v[vgprValuB_X6_I0+1+0+0], a[16:31]


/* closeLoop loopL finalLoop=0 tailLoop=1 */
s_sub_i32 s[sgprTailLoopCounter], s[sgprTailLoopCounter], 0x8 // dec counterL (tailLoop)
s_add_u32 s[sgprOrigLoopCounter], s[sgprOrigLoopCounter], 0x8 // inc counterL
s_cmp_le_i32 s[sgprTailLoopCounter], 0x0           // counterL<=0
s_cbranch_scc1 TailLoopEndL_7                      // exit LoopL


/* tail loop unroll iter 7 */


/* local read a */

_ds_load_b32 v[vgprValuA_X7_I0+0], v[vgprLocalReadAddrA] offset:0 // L -> Reg lro=0 swapByteOffset=0 ti=64 vIdx=0 rIdx=0 oIdx=0 buffer=7 iui=0


/* local read b */

_ds_load_b32 v[vgprValuB_X7_I0+0], v[vgprLocalReadAddrB] offset:0 // L -> Reg lro=0 swapByteOffset=0 ti=64 vIdx=0 rIdx=0 oIdx=0 buffer=7 iui=0
_ds_load_b32 v[vgprValuB_X7_I0+1], v[vgprLocalReadAddrB] offset:4608 // L -> Reg lro=0 swapByteOffset=0 ti=64 vIdx=1 rIdx=0 oIdx=0 buffer=7 iui=0


/* local read inc a */

s_mov_b32 s75, 0x8                                 // inc
_v_add_co_u32 v[vgprLocalReadAddrA], vcc, s75, v[vgprLocalReadAddrA] // lrA += 8 (LSU*bpe)


/* local read inc b */

s_mov_b32 s75, 0x8                                 // inc
_v_add_co_u32 v[vgprLocalReadAddrB], vcc, s75, v[vgprLocalReadAddrB] // lrB += 8 (LSU*bpe)

s_waitcnt lgkmcnt(0)                               // lgkmcnt=0 vmcnt=-14wait for local read


	;; [unrolled: 1-line block ×3, first 2 shown]
/* tail loop mfma iter 7: numReadsIterCoalescedA=1, numReadsIterCoalescedB=1 */
v_and_b32 v45, 63, v[vgprSerial]                   // v45 = v[vgprSerial] % 64
v_lshrrev_b32 v45, 5, v45                          // v45 = v45 / 32
v_lshlrev_b32 v45, 0x2, v45                        // v45 = v45 * 4
v_cmp_ge_i32 s[76:77], v45, s[sgprTailLoopCounter] // check K index >= Size L
v_cndmask_b32 v[vgprValuA_X7_I0+0+0+0+0], v[vgprValuA_X7_I0+0+0+0+0], 0x0, s[76:77] // set 0 if K_idx >= sizeL
v_cndmask_b32 v[vgprValuB_X7_I0+0+0+0+0], v[vgprValuB_X7_I0+0+0+0+0], 0x0, s[76:77] // set 0 if K_idx >= sizeL
v_cndmask_b32 v[vgprValuB_X7_I0+1+0+0+0], v[vgprValuB_X7_I0+1+0+0+0], 0x0, s[76:77] // set 0 if K_idx >= sizeL
_v_sub_u32 v45, s[sgprTailLoopCounter], v45        // get distance between size and k index
v_cmp_lt_i32 s[76:77], v45, 4                      // set partial 0 if distance less than input per thread
s_and_b32 s78, s[sgprTailLoopCounter], 3           // get inputs for edge thread
s_sub_u32 s78, 4, s78                              // use shift to fill 0 for outside element
s_lshl_b32 s78, s78, 3                             // use shift to fill 0 for outside element
v_mov_b32 v46, -1                                  // set 0xffffffff
v_lshrrev_b32 v46, s78, v46                        // rshift mask for partial k
v_cndmask_b32 v46, -1, v46, s[76:77]               // select shifted mask for partial k
v_and_b32 v[vgprValuA_X7_I0+0+0+0+0], v[vgprValuA_X7_I0+0+0+0+0], v46 // 
v_and_b32 v[vgprValuB_X7_I0+0+0+0+0], v[vgprValuB_X7_I0+0+0+0+0], v46 // 
v_and_b32 v[vgprValuB_X7_I0+1+0+0+0], v[vgprValuB_X7_I0+1+0+0+0], v46 // 
s_nop 1
v_mfma_i32_32x32x8i8 a[0+0:15+0], v[vgprValuA_X7_I0+0+0+0], v[vgprValuB_X7_I0+0+0+0], a[0:15]
v_mfma_i32_32x32x8i8 a[16+0:31+0], v[vgprValuA_X7_I0+0+0+0], v[vgprValuB_X7_I0+1+0+0], a[16:31]


/* closeLoop loopL finalLoop=1 tailLoop=1 */
s_sub_i32 s[sgprTailLoopCounter], s[sgprTailLoopCounter], 0x8 // dec counterL (tailLoop)
s_add_u32 s[sgprOrigLoopCounter], s[sgprOrigLoopCounter], 0x8 // inc counterL
s_cmp_le_i32 s[sgprTailLoopCounter], 0x0           // counterL<=0
s_cbranch_scc0 TailLoopBeginL_6                    // restart LoopL
TailLoopEndL_7:
v_mov_b32 v[vgprLocalReadAddrA], v43               // restore LRA
v_mov_b32 v[vgprLocalReadAddrB], v44               // restore LRA

SkipTailLoopL_8:


/******************************************/
/* PrefetchAcrossPersistent - Open        */
/******************************************/
s_mul_i32 s75, s[sgprNumWorkGroups0], s[sgprNumWorkGroups1] // Total WG-0x1
s_cmp_ge_u32 s[sgprSerialWorkGroupIter], s75       // outside legal WG?
s_cbranch_scc1 SkipPrefetchAcrossPersistent_38     // skip pf if OOB - last tile no PAP, go to pure OptNLL


/******************************************/
/* Begin setupNewTile, isPap=True           */
/******************************************/


/* global read addresses: work-group */

/* compute SerialWorkGroupIter / problemNumGroupTiles0 (aka numWorkGroups0) */
s_mul_hi_u32 s77, s[sgprSerialWorkGroupIter], s[sgprMagicNumberProblemNumGroupTiles0] //  s_magic mul, div alg 2
s_lshr_b32 s78, s[sgprMagicShiftProblemNumGroupTiles0], 31 //  tmpS = extract abit
s_mul_i32 s76, s[sgprSerialWorkGroupIter], s78     //  s_magic mul, div alg 2
s_add_u32 s76, s76, s77                            // 
s_and_b32 s78, s[sgprMagicShiftProblemNumGroupTiles0], 0x7fffffff //  tmpS = remove abit to final shift
s_lshr_b32 s76, s76, s78                           //  sMagicDiv Alg 2
s_mov_b32 s[sgprWorkGroup1], s76                   // wg1 = SerialWorkGroupIter / problemNumGroupTiles0
s_mul_i32 s[sgprWorkGroup0], s76, s[sgprNumWorkGroups0] // remainder part 1 : quotient * divisor
s_sub_u32 s[sgprWorkGroup0], s[sgprSerialWorkGroupIter], s[sgprWorkGroup0] // wg0 = SerialWorkGroupIter % problemNumGroupTiles0

/* graWorkGroup mapping */
s_mov_b32 s79, 0x40000001L                         // magic number for WGM==2
s_mul_hi_u32 s77, s[sgprWorkGroup1], s79           // s_magic mul
s_mul_i32 s76, s[sgprWorkGroup1], s79              // s_magic mul
s_lshr_b64 s[76:77], s[76:77], 31                  // sMagicDiv
s_mul_i32 s77, s76, 2                              // quotient * non-magic divisor
s_sub_u32 s77, s[sgprWorkGroup1], s77              // WorkGroup1=remainder
s_mul_i32 s77, s77, s[sgprNumWorkGroups0]          // (wg1 % WGM)*nwg0
s_add_u32 s77, s77, s[sgprWorkGroup0]              // wgSerial = wg0 + (wg1 % WGM)*nwg1
s_cmp_ge_u32 s76, s[sgprNumFullBlocks]             // blockId >= numFullBlocks ?
s_cmov_b32 s79, s[sgprMagicNumberWgmRemainder1]    // 
s_cselect_b32 s78, s[sgprWgmRemainder1], 2         // 
s_mul_hi_u32 s3, s77, s79                          // s_magic mul
s_mul_i32 s2, s77, s79                             // s_magic mul
s_lshr_b64 s[2:3], s[2:3], 31                      // sMagicDiv
s_mul_i32 s[sgprWorkGroup1], s[sgprWorkGroup0], s78 // quotient * non-magic divisor
s_sub_u32 s[sgprWorkGroup1], s77, s[sgprWorkGroup1] // WorkGroup1=remainder
s_mul_i32 s76, s76, 2                              // blockId * WGM
s_add_u32 s[sgprWorkGroup1], s[sgprWorkGroup1], s76 // wg1 += blockId * WGM


/* global read addresses: tile offset assignment a */

/* LVCA = 4 */
/* v43 = (local)groA-tile = serial/LVCA (note (wgA*MTA) will be added to SRD) */
/* v44 = groA-unroll = serial%LVCA */
v_and_b32 v45, 63, v[vgprSerial]                   // v45 = v[vgprSerial] % 64
v_lshrrev_b32 v43, 2, v45                          // v43 = v45 / 4
v_and_b32 v44, 3, v45                              // v44 = v45 % 4
v_readfirstlane_b32 s75, v[vgprSerial]             // WaveIdxWavefrontWidth
s_lshr_b32 s75, s75, 0x6                           // WaveId
s_mul_i32 s75, s75, 16                             // Global Read Wave: each wave loads continuous lsp(16)*nrp(1) columns
_v_add_u32 v43, s75, v43                           // Global Read Wave: add back to column index
/* gro-unroll *= glvw */
v_lshlrev_b32 v44, 0x4, v44                        // v44 = v44 * 16


/* global read addresses: tile offset assignment b */

/* LVCB = 4 */
/* v45 = (local)groB-tile = serial/LVCB (note (wgB*MTB) will be added to SRD) */
/* v46 = groB-unroll = serial%LVCB */
v_and_b32 v47, 63, v[vgprSerial]                   // v47 = v[vgprSerial] % 64
v_lshrrev_b32 v45, 2, v47                          // v45 = v47 / 4
v_and_b32 v46, 3, v47                              // v46 = v47 % 4
v_readfirstlane_b32 s75, v[vgprSerial]             // WaveIdxWavefrontWidth
s_lshr_b32 s75, s75, 0x6                           // WaveId
s_mul_i32 s75, s75, 32                             // Global Read Wave: each wave loads continuous lsp(16)*nrp(2) columns
_v_add_u32 v45, s75, v45                           // Global Read Wave: add back to column index
/* gro-unroll *= glvw */
v_lshlrev_b32 v46, 0x4, v46                        // v46 = v46 * 16


/* global read addresses: unroll assignment a */


	;; [unrolled: 1-line block ×3, first 2 shown]
/* global read addresses: unroll assignment b */


	;; [unrolled: 1-line block ×3, first 2 shown]
/* global read addresses: other free assignments */

/* s[sgprWorkGroup2] */


/* global read addresses: tile offsets a */


	;; [unrolled: 1-line block ×3, first 2 shown]
/* global read addresses: tile offsets b */


	;; [unrolled: 1-line block ×3, first 2 shown]
/* global read addresses: unroll offsets a */


	;; [unrolled: 1-line block ×3, first 2 shown]
/* global read addresses: unroll offsets b */


	;; [unrolled: 1-line block ×3, first 2 shown]
/* global read addresses: final offsets a */


	;; [unrolled: 1-line block ×3, first 2 shown]
/* global read addresses: final offsets b */


	;; [unrolled: 1-line block ×3, first 2 shown]
/* global read addresses: addresses a */

/* max read offset = size[n] * stride[n-1] */
s_mul_hi_u32 s79, s[sgprWorkGroup0], 64            // WorkGroup[01] * MT
s_mul_i32 s78, s[sgprWorkGroup0], 64               // WorkGroup[01] * MT
s_mul_hi_u32 s79, s78, s[sgprStrideA0I]            // tlu=0, scaled tile-offset by stride
s_mul_i32 s78, s78, s[sgprStrideA0I]               // tlu=0, scaled tile-offset by stride
s_sub_u32 s[sgprShadowLimitA+0], s[sgprTensor2dSizeA], s78 // sub tileStart
s_subb_u32 s[sgprShadowLimitA+1], s[sgprTensor2dSizeA+1], s79 // sub tileStart
s_lshl_b64 s[sgprShadowLimitA:sgprShadowLimitA+1], s[sgprShadowLimitA:sgprShadowLimitA+1], 0x0 // Set limit to use bytes
s_add_u32 s[sgprShadowLimitA+0], s[sgprShadowLimitA+0], 16 // extend limit for pre-pad
s_addc_u32 s[sgprShadowLimitA+1], s[sgprShadowLimitA+1], 0 // extend limit for pre-pad
s_cmp_eq_u32 s[sgprShadowLimitA+1], 0              // are we within 2^32?
s_cselect_b32 s[sgprSrdA+2], s[sgprShadowLimitA+0], BufferLimitA // Move shadow to real if we are within 2^32
                                                   // tileStart *= BPE (multiplier is 1, do nothing)
s_add_u32 s[sgprSrdA+0], s[sgprAddressA+0], s78    // SRD base = Address+ tileStart0
s_addc_u32 s[sgprSrdA+1], s[sgprAddressA+1], s79   // SRD base = Address+ tileStart1


/* global read addresses: addresses b */

/* max read offset = size[n] * stride[n-1] */
s_mul_hi_u32 s79, s[sgprWorkGroup1], 128           // WorkGroup[01] * MT
s_mul_i32 s78, s[sgprWorkGroup1], 128              // WorkGroup[01] * MT
s_mul_hi_u32 s79, s78, s[sgprStrideB1J]            // tlu=0, scaled tile-offset by stride
s_mul_i32 s78, s78, s[sgprStrideB1J]               // tlu=0, scaled tile-offset by stride
s_sub_u32 s[sgprShadowLimitB+0], s[sgprTensor2dSizeB], s78 // sub tileStart
s_subb_u32 s[sgprShadowLimitB+1], s[sgprTensor2dSizeB+1], s79 // sub tileStart
s_lshl_b64 s[sgprShadowLimitB:sgprShadowLimitB+1], s[sgprShadowLimitB:sgprShadowLimitB+1], 0x0 // Set limit to use bytes
s_add_u32 s[sgprShadowLimitB+0], s[sgprShadowLimitB+0], 16 // extend limit for pre-pad
s_addc_u32 s[sgprShadowLimitB+1], s[sgprShadowLimitB+1], 0 // extend limit for pre-pad
s_cmp_eq_u32 s[sgprShadowLimitB+1], 0              // are we within 2^32?
s_cselect_b32 s[sgprSrdB+2], s[sgprShadowLimitB+0], BufferLimitB // Move shadow to real if we are within 2^32
                                                   // tileStart *= BPE (multiplier is 1, do nothing)
s_add_u32 s[sgprSrdB+0], s[sgprAddressB+0], s78    // SRD base = Address+ tileStart0
s_addc_u32 s[sgprSrdB+1], s[sgprAddressB+1], s79   // SRD base = Address+ tileStart1


/* global read addresses: increments a */


	;; [unrolled: 1-line block ×3, first 2 shown]
/* global read addresses: increments b */


	;; [unrolled: 1-line block ×3, first 2 shown]
/******************************************/
/* Local Write Addresses                  */
/******************************************/

/* lwaTileAssignmentA = v43 */

/* lwaTileAssignmentB = v45 */

/* lwaUnrollAssignmentA = v44 */

/* lwaUnrollAssignmentB = v46 */


/* local write addresses: first offset a */

v_mul_u32_u24 v[vgprLocalWriteAddrA], 0x40, v43    // lwAL**(DepthU_Compute + PAD)
_v_add_lshl_u32 v[vgprLocalWriteAddrA], v44, v[vgprLocalWriteAddrA], 0x0 // lwFOA = (lwAA + lwAL*(DepthU+PAD))*bpe
v_lshrrev_b32 v44, 7, v[vgprLocalWriteAddrA]       // padding 16 per block 128
v_lshlrev_b32 v44, 0x4, v44                        // padding 16 per block 128
_v_add_u32 v[vgprLocalWriteAddrA], v44, v[vgprLocalWriteAddrA] // add padding 16 per block 128


/* local write addresses: first offset b */

v_mul_u32_u24 v[vgprLocalWriteAddrB], 0x40, v45    // lwBL**(DepthU_Compute + PAD)
_v_add_lshl_u32 v[vgprLocalWriteAddrB], v46, v[vgprLocalWriteAddrB], 0x0 // lwFOB = (lwBB + lwBL*(DepthU+PAD))*bpe
v_lshrrev_b32 v46, 7, v[vgprLocalWriteAddrB]       // padding 16 per block 128
v_lshlrev_b32 v46, 0x4, v46                        // padding 16 per block 128
_v_add_u32 v[vgprLocalWriteAddrB], v46, v[vgprLocalWriteAddrB] // add padding 16 per block 128
_v_add_co_u32 v[vgprLocalWriteAddrB], vcc, 0x1200, v[vgprLocalWriteAddrB] // lwFOB = lwB1J + lwBL*MT1J + LDS_OFFSET_B=4608*1


	;; [unrolled: 1-line block ×7, first 2 shown]
/* declare loop num iterations */


s_lshr_b32 s[sgprLoopCounterL], s[sgprSizesSum+0], 6 // s[sgprLoopCounterL] = s[sgprSizesSum+0] / 64
s_mov_b32 s[sgprOrigLoopCounter], s[sgprLoopCounterL] // copy loop counter

s_and_b32 s[sgprStaggerUIter], s[sgprOrigStaggerUIter], s[sgprWorkGroup0] // Compute actual stagger start for this tile
s_lshl_b32 s[sgprStaggerUIter], s[sgprStaggerUIter], 1 // shift by StaggerUStride


/* SRDs += (StaggerUIter) * GlobalReadIncsA+0 */
s_mul_hi_u32 s77, s[sgprStaggerUIter], s[sgprGlobalReadIncsA+0] //  stagger byte offset
s_mul_i32 s76, s[sgprStaggerUIter], s[sgprGlobalReadIncsA+0] //  stagger byte offset
s_mul_hi_u32 s[sgprWrapUA+1], s[sgprLoopCounterL], s[sgprGlobalReadIncsA+0] // Number of bytes accessed by the unroll loop
s_mul_i32 s[sgprWrapUA+0], s[sgprLoopCounterL], s[sgprGlobalReadIncsA+0] // Number of bytes accessed by the unroll loop
s_sub_u32 s[sgprWrapUA+0], s[sgprGlobalReadIncsA+0], s[sgprWrapUA+0] // remove one iteration
s_subb_u32 s[sgprWrapUA+1], 0, s[sgprWrapUA+1]     // remove one iteration
s_add_u32 s[sgprSrdA+0], s[sgprSrdA+0], s76        // gra SRD += inc(lower)
s_addc_u32  s[sgprSrdA+1], s[sgprSrdA+1], s77      // gra SRD += inc(upper)
s_sub_u32 s[sgprShadowLimitA+0], s[sgprShadowLimitA+0], s76 // limit -= inc)
s_subb_u32 s[sgprShadowLimitA+1], s[sgprShadowLimitA+1], s77 // limit -= inc)
s_cmp_eq_u32 s[sgprShadowLimitA+1], 0              // are we within 2^32?
s_cselect_b32 s[sgprSrdA+2], s[sgprShadowLimitA+0], BufferLimitA // Move shadow to real if we are within 2^32


/* SRDs += (StaggerUIter) * GlobalReadIncsB+0 */
s_mul_hi_u32 s77, s[sgprStaggerUIter], s[sgprGlobalReadIncsB+0] //  stagger byte offset
s_mul_i32 s76, s[sgprStaggerUIter], s[sgprGlobalReadIncsB+0] //  stagger byte offset
s_mul_hi_u32 s[sgprWrapUB+1], s[sgprLoopCounterL], s[sgprGlobalReadIncsB+0] // Number of bytes accessed by the unroll loop
s_mul_i32 s[sgprWrapUB+0], s[sgprLoopCounterL], s[sgprGlobalReadIncsB+0] // Number of bytes accessed by the unroll loop
s_sub_u32 s[sgprWrapUB+0], s[sgprGlobalReadIncsB+0], s[sgprWrapUB+0] // remove one iteration
s_subb_u32 s[sgprWrapUB+1], 0, s[sgprWrapUB+1]     // remove one iteration
s_add_u32 s[sgprSrdB+0], s[sgprSrdB+0], s76        // gra SRD += inc(lower)
s_addc_u32  s[sgprSrdB+1], s[sgprSrdB+1], s77      // gra SRD += inc(upper)
s_sub_u32 s[sgprShadowLimitB+0], s[sgprShadowLimitB+0], s76 // limit -= inc)
s_subb_u32 s[sgprShadowLimitB+1], s[sgprShadowLimitB+1], s77 // limit -= inc)
s_cmp_eq_u32 s[sgprShadowLimitB+1], 0              // are we within 2^32?
s_cselect_b32 s[sgprSrdB+2], s[sgprShadowLimitB+0], BufferLimitB // Move shadow to real if we are within 2^32
s_add_u32 s[sgprStaggerUIter], s[sgprStaggerUIter], 2 // Subtract (PGR-1); StaggerUIter now contains target iteration to wrap

/* local read addresses: reset offset a */


/* localReadResetOffsets */
/* handled internally */
v_and_b32 v[vgprLocalReadAddrA], 0x3fff, v[vgprLocalReadAddrA] // reset Red,Blk -> Red

/* local read addresses: reset offset b */


/* localReadResetOffsets */
/* handled internally */
v_and_b32 v[vgprLocalReadAddrB], 0x3fff, v[vgprLocalReadAddrB] // reset Red,Blk -> Red


/* prefetch: global -> local */

s_cmp_eq_u32 s[sgprLoopCounterL], 0                // at last iteration?
s_cbranch_scc1 SkipPrefetchAcrossPersistent_38     // skip prefetch loads since numIter==0


_buffer_load_b128 v[vgprG2LA+0:vgprG2LA+0+3], v[vgprGlobalReadOffsetA+0], s[sgprSrdA:sgprSrdA+3], 0, offen offset:0 // G -> Reg 0_0_0_0


_buffer_load_b128 v[vgprG2LB+0:vgprG2LB+0+3], v[vgprGlobalReadOffsetB+0], s[sgprSrdB:sgprSrdB+3], 0, offen offset:0 // G -> Reg 0_0_0_0
_buffer_load_b128 v[vgprG2LB+4:vgprG2LB+4+3], v[vgprGlobalReadOffsetB+0], s[sgprSrdB:sgprSrdB+3], s[sgprScalarGlobalReadOffsetB+0], offen offset:0 // G -> Reg 0_0_1_0


/* global read inc A loopL */
s_add_u32 s78, s[sgprLoopCounterL], 1              // remove pf(1)
s_cmp_eq_u32 s[sgprStaggerUIter], s78              // Is this wrapIter? (pf)
s_cselect_b32 s76, s[sgprWrapUA+0], s[sgprGlobalReadIncsA+0] // incLower <- ?
s_cselect_b32 s77, s[sgprWrapUA+1], 0              // incUpper <- ?
s_add_u32 s[sgprSrdA+0], s[sgprSrdA+0], s76        // gra SRD += inc(lower)
s_addc_u32  s[sgprSrdA+1], s[sgprSrdA+1], s77      // gra SRD += inc(upper)
s_sub_u32 s[sgprShadowLimitA+0], s[sgprShadowLimitA+0], s76 // limit -= inc)
s_subb_u32 s[sgprShadowLimitA+1], s[sgprShadowLimitA+1], s77 // limit -= inc)
s_cmp_eq_u32 s[sgprShadowLimitA+1], 0              // are we within 2^32?
s_cselect_b32 s[sgprSrdA+2], s[sgprShadowLimitA+0], BufferLimitA // Move shadow to real if we are within 2^32

/* global read inc B loopL */
s_add_u32 s78, s[sgprLoopCounterL], 1              // remove pf(1)
s_cmp_eq_u32 s[sgprStaggerUIter], s78              // Is this wrapIter? (pf)
s_cselect_b32 s76, s[sgprWrapUB+0], s[sgprGlobalReadIncsB+0] // incLower <- ?
s_cselect_b32 s77, s[sgprWrapUB+1], 0              // incUpper <- ?
s_add_u32 s[sgprSrdB+0], s[sgprSrdB+0], s76        // gra SRD += inc(lower)
s_addc_u32  s[sgprSrdB+1], s[sgprSrdB+1], s77      // gra SRD += inc(upper)
s_sub_u32 s[sgprShadowLimitB+0], s[sgprShadowLimitB+0], s76 // limit -= inc)
s_subb_u32 s[sgprShadowLimitB+1], s[sgprShadowLimitB+1], s77 // limit -= inc)
s_cmp_eq_u32 s[sgprShadowLimitB+1], 0              // are we within 2^32?
s_cselect_b32 s[sgprSrdB+2], s[sgprShadowLimitB+0], BufferLimitB // Move shadow to real if we are within 2^32


/******************************************/
/* End setupNewTile, isPap=True             */
/******************************************/

SkipPrefetchAcrossPersistent_38: //SkipPrefetchAcrossPersistent
/******************************************/
/* PrefetchAcrossPersistent - Close       */
/******************************************/

Summation_End_39:
/* endSummation: add vgpr [0...24) to pool */

/* Mapping of Acc register -> C Vgpr register */


	;; [unrolled: 1-line block ×3, first 2 shown]
/* not-LocalSplitU: global write indices */

/* computeStoreVgprs */
v_lshrrev_b32 v4, 6, v[vgprSerial]                 // v4 = v[vgprSerial] / 64
v_lshrrev_b32 v1, 1, v4                            // v1 = v4 / 2
v_mul_lo_u32 v1, 0x20, v1                          // wave coordination offset 1
v_and_b32 v5, 31, v[vgprSerial]                    // v5 = v[vgprSerial] % 32
_v_add_lshl_u32 v1, v5, v1, 0                      // coordination 1 = vwb *(wave_id1 + tid1)
v_mul_lo_u32 v2, v1, s[sgprStrideC1J]              //  offset 1
v_mul_lo_u32 v3, v1, s[sgprStrideD1J]              //  offset 1
v_and_b32 v0, 63, v[vgprSerial]                    // v0 = v[vgprSerial] % 64
v_lshrrev_b32 v0, 5, v0                            // v0 = v0 / 32
v_lshlrev_b32 v0, 0x2, v0                          // thread0 * continuous_output
v_and_b32 v5, 1, v4                                // v5 = v4 % 2
v_mul_lo_u32 v5, 0x20, v5                          // wave coordination offset 0
_v_add_lshl_u32 v0, v5, v0, 0                      // coordination 0 = vwa *(wave_id0 + tid0)
s_mul_i32 s75, 64, s[sgprPrevWorkGroup0]           // wgp0 * MT0
_v_add_u32 v0, s75, v0                             // coord 0 = (tid0/MI_m)*4 + waveG0*MIB_m + MT0*SG0
s_mul_i32 s75, 128, s[sgprPrevWorkGroup1]          // wgp1 * MT1
_v_add_u32 v1, s75, v1                             // coord 1 = (tid0%MI_m) + waveG1*MIB_n + MT1*SG1
/* Store Remap Local Write address */
v_lshrrev_b32 v5, 7, v[vgprSerial]                 // v5 = v[vgprSerial] / 128
v_and_b32 v4, 127, v[vgprSerial]                   // v4 = v[vgprSerial] % 128
v_mul_lo_u32 v13, 0x20, v5                         // coord1 offset of LDS for each Wave
v_and_b32 v5, 0x1f, v[vgprSerial]                  // coord1 offset of LDS for each thread
_v_add_u32 v5, v13, v5                             // coord1 offset in MacroTile
v_mov_b32 v11, 0x44                                // lds stride = MT0 + PAD
v_mul_lo_u32 v9, v5, v11                           // lds coord1 offset = Col-id* lds stride
v_lshrrev_b32 v10, 6, v4                           // v10 = v4 / 64
v_and_b32 v4, 63, v4                               // v4 = v4 % 64
v_lshrrev_b32 v12, 0x5, v4                         // tid / matrixInstN
v_lshlrev_b32 v12, 0x2, v12                        // lds coord0 offset *= 4 (each thread hold 4 element)
v_mad_u32_u24 v12, 32, v10, v12                    // coord0 += waveCoord0 * wave M shape(blockM*MiM)
_v_add_lshl_u32 v7, v9, v12, 0x2                   // local write C address

/* Store Remap Local Read address */
v_lshrrev_b32 v5, 6, v[vgprSerial]                 // v5 = v[vgprSerial] / 64
v_and_b32 v4, 63, v[vgprSerial]                    // v4 = v[vgprSerial] % 64
v_mul_lo_u32 v13, 0x10, v5                         // coord1 offset of LDS for each Wave
v_lshrrev_b32 v10, 0x4, v4                         // tid / nThreadPerCol
_v_add_u32 v6, v13, v10                            // coord1 offset in MacroTile
v_mul_lo_u32 v9, v6, v11                           // lds coord1 offset = Col-id* lds stride
v_and_b32 v12, 0xf, v4                             // coord0 offset of LDS for each thread
v_lshlrev_b32 v12, 0x2, v12                        // lds coord0 offset *= gwvw (each thread hold gwvw element)
_v_add_lshl_u32 v8, v9, v12, 0x2                   // local read C address

/* Store Remap global write coord0 and coord1 */
v_lshrrev_b32 v5, 7, v[vgprSerial]                 // v5 = v[vgprSerial] / 128
v_and_b32 v4, 127, v[vgprSerial]                   // v4 = v[vgprSerial] % 128
v_mul_lo_u32 v13, 0x20, v5                         // coord1 offset of global memory for each Wave
v_lshrrev_b32 v5, 6, v4                            // v5 = v4 / 64
v_and_b32 v4, 63, v4                               // v4 = v4 % 64
v_mad_u32_u24 v13, 16, v5, v13                     // waveCoord1 += waveCoord0 * MiN / WaveGroupM
v_lshrrev_b32 v10, 0x4, v4                         // tid / nThreadPerCol
_v_add_u32 v6, v13, v10                            // coord1 offset in MacroTile
s_mul_i32 s76, 0x40, s[sgprPrevWorkGroup0]         // s76 = wg0*MT0
_v_add_co_u32 v4, vcc, s76, v12                    // coord0 = coord0 + wg0 * MT0
s_mul_i32 s77, MT1, s[sgprPrevWorkGroup1]          // <- wg1*MT1
_v_add_co_u32 v5, vcc, s77, v6                     // coord1 = tid1*VW + wg1*MT1

// Skip force waitcnt0
s_barrier //StoreRemap Start


/* not-LocalSplitU: global write */

s_cmpk_eq_u32 s[sgprBeta], 0x0                     // Beta == 0
s_cbranch_scc0 GW_Beta_54                          // Branch if Beta is not zero

s_and_b32 s76, 63, s[sgprSizeI]                    // s76 = s[sgprSizeI] % 64
s_add_u32 s77, -0x1, s[sgprNumWorkGroups0]         // 
s_cmp_ge_u32 s[sgprPrevWorkGroup0], s77            // wg0 >= nwg0-1 ?
s_cselect_b32 s76, s76, 0                          // set rMT0
s_cmpk_gt_u32 s76, 0x0                             // rMT0 > 0
s_cbranch_scc1 GW_B0_E1_45                         // jump if edges required
s_and_b32 s76, 127, s[sgprSizeJ]                   // s76 = s[sgprSizeJ] % 128
s_add_u32 s77, -0x1, s[sgprNumWorkGroups1]         // 
s_cmp_ge_u32 s[sgprPrevWorkGroup1], s77            // wg1 >= nwg1-1
s_cselect_b32 s76, s76, 0                          // set rMT1
s_cmpk_gt_u32 s76, 0x0                             // rMT1 > 0
s_cbranch_scc1 GW_B0_E1_45                         // jump if edges required
GW_B0_E0_42:

/* edge=0, allocate 2 sgpr. perBatchTmpS=2 perBatchMaskS=0 perElementMaskS=0 elementsPerBatch=4 */
/* optSingleColVgpr=1 optSharedColVgpr=0 optSGPRUsage=BufferLoad_Mask optSrdIncForRow=1 */

/******************************************/
/* Global Write Alpha Batch #0 (d1,d0,vc1,vc0) = */
/*    (0,0,0,0:vw4); (0,1,0,0:vw4); (0,2,0,0:vw4); (0,3,0,0:vw4) */
/******************************************/

/* calc coords, apply mask, and issue loads (if necessary) */
/* (d1,vc1,d0,vc0)=(0,0,0,0) */
/* (d1,vc1,d0,vc0)=(0,0,1,0) */
	;; [unrolled: 1-line block ×4, first 2 shown]
_v_add_lshl_u32 v9, v3, v0, 0x2                    // optSingleColVgpr scaleToBpe: sharedAddrVgpr <- cinRowPtr + coord0, scaled by BPE. BSHERE:coord0=0, coord0Vgpr=0
v_accvgpr_read_b32 v[vgprValuC+16], acc0 // copy acc to vreg[0]
v_accvgpr_read_b32 v[vgprValuC+17], acc1 // copy acc to vreg[1]
v_accvgpr_read_b32 v[vgprValuC+18], acc2 // copy acc to vreg[2]
v_accvgpr_read_b32 v[vgprValuC+19], acc3 // copy acc to vreg[3]
v_accvgpr_read_b32 v[vgprValuC+20], acc4 // copy acc to vreg[4]
v_accvgpr_read_b32 v[vgprValuC+21], acc5 // copy acc to vreg[5]
v_accvgpr_read_b32 v[vgprValuC+22], acc6 // copy acc to vreg[6]
v_accvgpr_read_b32 v[vgprValuC+23], acc7 // copy acc to vreg[7]
v_accvgpr_read_b32 v[vgprValuC+44], acc8 // copy acc to vreg[8]
v_accvgpr_read_b32 v[vgprValuC+45], acc9 // copy acc to vreg[9]
v_accvgpr_read_b32 v[vgprValuC+46], acc10 // copy acc to vreg[10]
v_accvgpr_read_b32 v[vgprValuC+47], acc11 // copy acc to vreg[11]
v_accvgpr_read_b32 v[vgprValuC+48], acc12 // copy acc to vreg[12]
v_accvgpr_read_b32 v[vgprValuC+49], acc13 // copy acc to vreg[13]
v_accvgpr_read_b32 v[vgprValuC+50], acc14 // copy acc to vreg[14]
v_accvgpr_read_b32 v[vgprValuC+51], acc15 // copy acc to vreg[15]
s_nop 1                                            // 2 wait states required before reading vgpr

/* rC *= alpha batchElements=[(0, 0, 0, 0), (0, 1, 0, 0), (0, 2, 0, 0), (0, 3, 0, 0)] */
v_mul_lo_u32 v[vgprValuC+16], s[sgprAlpha], v[vgprValuC+16] // *= alpha
v_mul_lo_u32 v[vgprValuC+17], s[sgprAlpha], v[vgprValuC+17] // *= alpha
	;; [unrolled: 1-line block ×16, first 2 shown]

/* apply mask, calc new C and issue writes */
_ds_store_b128 v7, v[16:19], offset:0              // storeRemap lw
_ds_store_b128 v7, v[20:23], offset:32             // storeRemap lw
_ds_store_b128 v7, v[44:47], offset:64             // storeRemap lw
	;; [unrolled: 1-line block ×3, first 2 shown]

/* Handle local read and global write */
s_waitcnt lgkmcnt(0)                               // wait for LDS write
s_barrier //wait all lds write finished

_ds_load_b128 v[16:19], v8, offset:0               // storeRemap lr
_ds_load_b128 v[20:23], v8, offset:1088            // storeRemap lr
_ds_load_b128 v[44:47], v8, offset:2176            // storeRemap lr
	;; [unrolled: 1-line block ×3, first 2 shown]

v_mov_b32 v13, v6                                  // coord1
v_mul_lo_u32 v13, v13, s[sgprStrideD1J]            // coord1 offset =  coord1 * StrideD
_v_add_lshl_u32 v13, v13, v4, 0x2                  // global write D address
s_waitcnt lgkmcnt(3)                               // wait for LDS read
_buffer_store_b128 v[16:19], v13, s[sgprSrdD:sgprSrdD+3], 0, offen, offset:0 // store D
_v_add_u32 v13, v6, 4                              // coord1 += nColPerLoad
v_mul_lo_u32 v13, v13, s[sgprStrideD1J]            // coord1 offset =  coord1 * StrideD
_v_add_lshl_u32 v13, v13, v4, 0x2                  // global write D address
s_waitcnt lgkmcnt(2)                               // wait for LDS read
_buffer_store_b128 v[20:23], v13, s[sgprSrdD:sgprSrdD+3], 0, offen, offset:0 // store D
_v_add_u32 v13, v6, 8                              // coord1 += nColPerLoad
v_mul_lo_u32 v13, v13, s[sgprStrideD1J]            // coord1 offset =  coord1 * StrideD
_v_add_lshl_u32 v13, v13, v4, 0x2                  // global write D address
s_waitcnt lgkmcnt(1)                               // wait for LDS read
_buffer_store_b128 v[44:47], v13, s[sgprSrdD:sgprSrdD+3], 0, offen, offset:0 // store D
_v_add_u32 v13, v6, 12                             // coord1 += nColPerLoad
v_mul_lo_u32 v13, v13, s[sgprStrideD1J]            // coord1 offset =  coord1 * StrideD
_v_add_lshl_u32 v13, v13, v4, 0x2                  // global write D address
s_waitcnt lgkmcnt(0)                               // wait for LDS read
_buffer_store_b128 v[48:51], v13, s[sgprSrdD:sgprSrdD+3], 0, offen, offset:0 // store D

s_barrier //wait all lds read finished
s_nop 0                                            // 1 wait state required when next inst writes vgprs held by previous dwordx4 store inst
/* optSingleColVgpr=1 optSharedColVgpr=0 optSGPRUsage=BufferLoad_Mask optSrdIncForRow=1 */

/******************************************/
/* Global Write Alpha Batch #1 (d1,d0,vc1,vc0) = */
/*    (1,0,0,0:vw4); (1,1,0,0:vw4); (1,2,0,0:vw4); (1,3,0,0:vw4) */
/******************************************/

/* calc coords, apply mask, and issue loads (if necessary) */
/* (d1,vc1,d0,vc0)=(1,0,0,0) */
/* (d1,vc1,d0,vc0)=(1,0,1,0) */
/* (d1,vc1,d0,vc0)=(1,0,2,0) */
/* (d1,vc1,d0,vc0)=(1,0,3,0) */
v_accvgpr_read_b32 v[vgprValuC+16], acc16 // copy acc to vreg[16]
v_accvgpr_read_b32 v[vgprValuC+17], acc17 // copy acc to vreg[17]
v_accvgpr_read_b32 v[vgprValuC+18], acc18 // copy acc to vreg[18]
v_accvgpr_read_b32 v[vgprValuC+19], acc19 // copy acc to vreg[19]
v_accvgpr_read_b32 v[vgprValuC+20], acc20 // copy acc to vreg[20]
v_accvgpr_read_b32 v[vgprValuC+21], acc21 // copy acc to vreg[21]
v_accvgpr_read_b32 v[vgprValuC+22], acc22 // copy acc to vreg[22]
v_accvgpr_read_b32 v[vgprValuC+23], acc23 // copy acc to vreg[23]
v_accvgpr_read_b32 v[vgprValuC+44], acc24 // copy acc to vreg[24]
v_accvgpr_read_b32 v[vgprValuC+45], acc25 // copy acc to vreg[25]
v_accvgpr_read_b32 v[vgprValuC+46], acc26 // copy acc to vreg[26]
v_accvgpr_read_b32 v[vgprValuC+47], acc27 // copy acc to vreg[27]
v_accvgpr_read_b32 v[vgprValuC+48], acc28 // copy acc to vreg[28]
v_accvgpr_read_b32 v[vgprValuC+49], acc29 // copy acc to vreg[29]
v_accvgpr_read_b32 v[vgprValuC+50], acc30 // copy acc to vreg[30]
v_accvgpr_read_b32 v[vgprValuC+51], acc31 // copy acc to vreg[31]
s_nop 1                                            // 2 wait states required before reading vgpr

/* rC *= alpha batchElements=[(1, 0, 0, 0), (1, 1, 0, 0), (1, 2, 0, 0), (1, 3, 0, 0)] */
v_mul_lo_u32 v[vgprValuC+16], s[sgprAlpha], v[vgprValuC+16] // *= alpha
v_mul_lo_u32 v[vgprValuC+17], s[sgprAlpha], v[vgprValuC+17] // *= alpha
	;; [unrolled: 1-line block ×16, first 2 shown]

/* apply mask, calc new C and issue writes */

/* StoreRemap: shift coord1 address */
s_mul_i32 s76, s[sgprStrideD1J], 256               // scale StrideD *= numRows(64) * bpe
s_add_u32  s[sgprSrdD+0], s[sgprSrdD+0], s76       // incToNextRow: gra SRD += inc(lower)
s_addc_u32  s[sgprSrdD+1], s[sgprSrdD+1], 0        // incToNextRow: gra SRD += inc(upper)
v_mov_b32 v10, 64                                  // set shift rows
_v_add_u32 v5, v5, v10                             // shift storeRemap coord1
_ds_store_b128 v7, v[16:19], offset:0              // storeRemap lw
_ds_store_b128 v7, v[20:23], offset:32             // storeRemap lw
_ds_store_b128 v7, v[44:47], offset:64             // storeRemap lw
	;; [unrolled: 1-line block ×3, first 2 shown]

/* Handle local read and global write */
s_waitcnt lgkmcnt(0)                               // wait for LDS write
s_barrier //wait all lds write finished

_ds_load_b128 v[16:19], v8, offset:0               // storeRemap lr
_ds_load_b128 v[20:23], v8, offset:1088            // storeRemap lr
_ds_load_b128 v[44:47], v8, offset:2176            // storeRemap lr
_ds_load_b128 v[48:51], v8, offset:3264            // storeRemap lr

v_mov_b32 v13, v6                                  // coord1
v_mul_lo_u32 v13, v13, s[sgprStrideD1J]            // coord1 offset =  coord1 * StrideD
_v_add_lshl_u32 v13, v13, v4, 0x2                  // global write D address
s_waitcnt lgkmcnt(3)                               // wait for LDS read
_buffer_store_b128 v[16:19], v13, s[sgprSrdD:sgprSrdD+3], 0, offen, offset:0 // store D
_v_add_u32 v13, v6, 4                              // coord1 += nColPerLoad
v_mul_lo_u32 v13, v13, s[sgprStrideD1J]            // coord1 offset =  coord1 * StrideD
_v_add_lshl_u32 v13, v13, v4, 0x2                  // global write D address
s_waitcnt lgkmcnt(2)                               // wait for LDS read
_buffer_store_b128 v[20:23], v13, s[sgprSrdD:sgprSrdD+3], 0, offen, offset:0 // store D
_v_add_u32 v13, v6, 8                              // coord1 += nColPerLoad
v_mul_lo_u32 v13, v13, s[sgprStrideD1J]            // coord1 offset =  coord1 * StrideD
_v_add_lshl_u32 v13, v13, v4, 0x2                  // global write D address
s_waitcnt lgkmcnt(1)                               // wait for LDS read
_buffer_store_b128 v[44:47], v13, s[sgprSrdD:sgprSrdD+3], 0, offen, offset:0 // store D
_v_add_u32 v13, v6, 12                             // coord1 += nColPerLoad
v_mul_lo_u32 v13, v13, s[sgprStrideD1J]            // coord1 offset =  coord1 * StrideD
_v_add_lshl_u32 v13, v13, v4, 0x2                  // global write D address
s_waitcnt lgkmcnt(0)                               // wait for LDS read
_buffer_store_b128 v[48:51], v13, s[sgprSrdD:sgprSrdD+3], 0, offen, offset:0 // store D

s_barrier //wait all lds read finished
s_nop 0                                            // 1 wait state required when next inst writes vgprs held by previous dwordx4 store inst
s_mov_b32 s[sgprPreLoopLWVmcntCase], 0x2           // for optimizing next PreLoop LW vmcnt, set to Case2
s_branch label_GW_End_53                           // jump to end
GW_B0_E1_45:

/* edge=0, allocate 6 sgpr. perBatchTmpS=4 perBatchMaskS=2 perElementMaskS=0 elementsPerBatch=4 */
/* optSingleColVgpr=0 optSharedColVgpr=0 optSGPRUsage=BufferLoad_Edge_Mask optSrdIncForRow=1 */

/******************************************/
/* Global Write Alpha Edge Batch #0 (d1,d0,vc1,vc0) = */
/*    (0,0,0,0:vw4); (0,1,0,0:vw4); (0,2,0,0:vw4); (0,3,0,0:vw4) */
/******************************************/

/* calc coords, apply mask, and issue loads (if necessary) */
/* (d1,vc1,d0,vc0)=(0,0,0,0) */
_v_add_lshl_u32 v9, v3, v0, 0x2                    // scaleToBpe: accumulate d0 lower and *= bpe into Cin addr
/* (d1,vc1,d0,vc0)=(0,0,1,0) */
_v_add_co_u32 v10, vcc, v0, 8                      // coord0.1: coord0 += d0*sg0*VW + vc0
_v_add_lshl_u32 v16, v3, v10, 0x2                  // scaleToBpe: accumulate d0 lower and *= bpe into Cin addr
/* (d1,vc1,d0,vc0)=(0,0,2,0) */
_v_add_co_u32 v10, vcc, v0, 16                     // coord0.1: coord0 += d0*sg0*VW + vc0
_v_add_lshl_u32 v17, v3, v10, 0x2                  // scaleToBpe: accumulate d0 lower and *= bpe into Cin addr
/* (d1,vc1,d0,vc0)=(0,0,3,0) */
_v_add_co_u32 v10, vcc, v0, 24                     // coord0.1: coord0 += d0*sg0*VW + vc0
_v_add_lshl_u32 v18, v3, v10, 0x2                  // scaleToBpe: accumulate d0 lower and *= bpe into Cin addr
v_accvgpr_read_b32 v[vgprValuC+12], acc0 // copy acc to vreg[0]
v_accvgpr_read_b32 v[vgprValuC+13], acc1 // copy acc to vreg[1]
v_accvgpr_read_b32 v[vgprValuC+14], acc2 // copy acc to vreg[2]
v_accvgpr_read_b32 v[vgprValuC+15], acc3 // copy acc to vreg[3]
v_accvgpr_read_b32 v[vgprValuC+20], acc4 // copy acc to vreg[4]
v_accvgpr_read_b32 v[vgprValuC+21], acc5 // copy acc to vreg[5]
v_accvgpr_read_b32 v[vgprValuC+22], acc6 // copy acc to vreg[6]
v_accvgpr_read_b32 v[vgprValuC+23], acc7 // copy acc to vreg[7]
v_accvgpr_read_b32 v[vgprValuC+44], acc8 // copy acc to vreg[8]
v_accvgpr_read_b32 v[vgprValuC+45], acc9 // copy acc to vreg[9]
v_accvgpr_read_b32 v[vgprValuC+46], acc10 // copy acc to vreg[10]
v_accvgpr_read_b32 v[vgprValuC+47], acc11 // copy acc to vreg[11]
v_accvgpr_read_b32 v[vgprValuC+48], acc12 // copy acc to vreg[12]
v_accvgpr_read_b32 v[vgprValuC+49], acc13 // copy acc to vreg[13]
v_accvgpr_read_b32 v[vgprValuC+50], acc14 // copy acc to vreg[14]
v_accvgpr_read_b32 v[vgprValuC+51], acc15 // copy acc to vreg[15]
s_nop 1                                            // 2 wait states required before reading vgpr

/* rC *= alpha batchElements=[(0, 0, 0, 0), (0, 1, 0, 0), (0, 2, 0, 0), (0, 3, 0, 0)] */
v_mul_lo_u32 v[vgprValuC+12], s[sgprAlpha], v[vgprValuC+12] // *= alpha
v_mul_lo_u32 v[vgprValuC+13], s[sgprAlpha], v[vgprValuC+13] // *= alpha
	;; [unrolled: 1-line block ×16, first 2 shown]

/* apply mask, calc new C and issue writes */
_ds_store_b128 v7, v[12:15], offset:0              // storeRemap lw
_ds_store_b128 v7, v[20:23], offset:32             // storeRemap lw
_ds_store_b128 v7, v[44:47], offset:64             // storeRemap lw
	;; [unrolled: 1-line block ×3, first 2 shown]

/* Handle local read and global write */
s_waitcnt lgkmcnt(0)                               // wait for LDS write
s_barrier //wait all lds write finished

_ds_load_b128 v[12:15], v8, offset:0               // storeRemap lr
_ds_load_b128 v[16:19], v8, offset:1088            // storeRemap lr
_ds_load_b128 v[20:23], v8, offset:2176            // storeRemap lr
	;; [unrolled: 1-line block ×3, first 2 shown]

s_waitcnt lgkmcnt(3)                               // wait for LDS read
_v_add_u32 v11, v5, 0                              // coord1 += nColPerLoad
_v_add_u32 v10, v4, 0                              // coord0 += element index of load vector
_v_add_u32 v9, v6, 0                               // offset coord1 += nColPerLoad
v_cmp_lt_u32 s[76:77], v10, s[sgprSizeI]           // coord0 < size0
v_cmp_lt_u32 s[78:79], v11, s[sgprSizeJ]           // coord1 < size1
s_and_b64 s[78:79], s[76:77], s[78:79]             // in0 && in1
v_mul_lo_u32 v9, v9, s[sgprStrideD1J]              // coord1 element offset =  coord1 * StrideD
_v_add_lshl_u32 v9, v9, v10, 0x2                   // scale to BPE
v_cndmask_b32 v9, -1, v9, s[78:79]                 // clip if OOB. offset
_buffer_store_b128 v[12:15], v9, s[sgprSrdD:sgprSrdD+3], 0, offen, offset:0 // store D
s_waitcnt lgkmcnt(2)                               // wait for LDS read
_v_add_u32 v11, v5, 4                              // coord1 += nColPerLoad
_v_add_u32 v10, v4, 0                              // coord0 += element index of load vector
_v_add_u32 v9, v6, 4                               // offset coord1 += nColPerLoad
v_cmp_lt_u32 s[76:77], v10, s[sgprSizeI]           // coord0 < size0
v_cmp_lt_u32 s[78:79], v11, s[sgprSizeJ]           // coord1 < size1
s_and_b64 s[78:79], s[76:77], s[78:79]             // in0 && in1
v_mul_lo_u32 v9, v9, s[sgprStrideD1J]              // coord1 element offset =  coord1 * StrideD
_v_add_lshl_u32 v9, v9, v10, 0x2                   // scale to BPE
v_cndmask_b32 v9, -1, v9, s[78:79]                 // clip if OOB. offset
_buffer_store_b128 v[16:19], v9, s[sgprSrdD:sgprSrdD+3], 0, offen, offset:0 // store D
	;; [unrolled: 11-line block ×3, first 2 shown]
s_waitcnt lgkmcnt(0)                               // wait for LDS read
_v_add_u32 v11, v5, 12                             // coord1 += nColPerLoad
_v_add_u32 v10, v4, 0                              // coord0 += element index of load vector
_v_add_u32 v9, v6, 12                              // offset coord1 += nColPerLoad
v_cmp_lt_u32 s[76:77], v10, s[sgprSizeI]           // coord0 < size0
v_cmp_lt_u32 s[78:79], v11, s[sgprSizeJ]           // coord1 < size1
s_and_b64 s[78:79], s[76:77], s[78:79]             // in0 && in1
v_mul_lo_u32 v9, v9, s[sgprStrideD1J]              // coord1 element offset =  coord1 * StrideD
_v_add_lshl_u32 v9, v9, v10, 0x2                   // scale to BPE
v_cndmask_b32 v9, -1, v9, s[78:79]                 // clip if OOB. offset
_buffer_store_b128 v[44:47], v9, s[sgprSrdD:sgprSrdD+3], 0, offen, offset:0 // store D

s_barrier //wait all lds read finished
s_nop 0                                            // 1 wait state required when next inst writes vgprs held by previous dwordx4 store inst
/* optSingleColVgpr=0 optSharedColVgpr=0 optSGPRUsage=BufferLoad_Edge_Mask optSrdIncForRow=1 */

/******************************************/
/* Global Write Alpha Edge Batch #1 (d1,d0,vc1,vc0) = */
/*    (1,0,0,0:vw4); (1,1,0,0:vw4); (1,2,0,0:vw4); (1,3,0,0:vw4) */
/******************************************/

/* calc coords, apply mask, and issue loads (if necessary) */
/* (d1,vc1,d0,vc0)=(1,0,0,0) */
_v_add_co_u32 v1, vcc, v1, 64                      // coord1.1: coord1Vgpr += d1*sg1*VW + vc1
_v_add_lshl_u32 v9, v3, v0, 0x2                    // scaleToBpe: accumulate d0 lower and *= bpe into Cin addr
/* (d1,vc1,d0,vc0)=(1,0,1,0) */
_v_add_co_u32 v10, vcc, v0, 8                      // coord0.1: coord0 += d0*sg0*VW + vc0
_v_add_lshl_u32 v16, v3, v10, 0x2                  // scaleToBpe: accumulate d0 lower and *= bpe into Cin addr
/* (d1,vc1,d0,vc0)=(1,0,2,0) */
_v_add_co_u32 v10, vcc, v0, 16                     // coord0.1: coord0 += d0*sg0*VW + vc0
_v_add_lshl_u32 v17, v3, v10, 0x2                  // scaleToBpe: accumulate d0 lower and *= bpe into Cin addr
/* (d1,vc1,d0,vc0)=(1,0,3,0) */
_v_add_co_u32 v10, vcc, v0, 24                     // coord0.1: coord0 += d0*sg0*VW + vc0
_v_add_lshl_u32 v18, v3, v10, 0x2                  // scaleToBpe: accumulate d0 lower and *= bpe into Cin addr
v_accvgpr_read_b32 v[vgprValuC+12], acc16 // copy acc to vreg[16]
v_accvgpr_read_b32 v[vgprValuC+13], acc17 // copy acc to vreg[17]
v_accvgpr_read_b32 v[vgprValuC+14], acc18 // copy acc to vreg[18]
v_accvgpr_read_b32 v[vgprValuC+15], acc19 // copy acc to vreg[19]
v_accvgpr_read_b32 v[vgprValuC+20], acc20 // copy acc to vreg[20]
v_accvgpr_read_b32 v[vgprValuC+21], acc21 // copy acc to vreg[21]
v_accvgpr_read_b32 v[vgprValuC+22], acc22 // copy acc to vreg[22]
v_accvgpr_read_b32 v[vgprValuC+23], acc23 // copy acc to vreg[23]
v_accvgpr_read_b32 v[vgprValuC+44], acc24 // copy acc to vreg[24]
v_accvgpr_read_b32 v[vgprValuC+45], acc25 // copy acc to vreg[25]
v_accvgpr_read_b32 v[vgprValuC+46], acc26 // copy acc to vreg[26]
v_accvgpr_read_b32 v[vgprValuC+47], acc27 // copy acc to vreg[27]
v_accvgpr_read_b32 v[vgprValuC+48], acc28 // copy acc to vreg[28]
v_accvgpr_read_b32 v[vgprValuC+49], acc29 // copy acc to vreg[29]
v_accvgpr_read_b32 v[vgprValuC+50], acc30 // copy acc to vreg[30]
v_accvgpr_read_b32 v[vgprValuC+51], acc31 // copy acc to vreg[31]
s_nop 1                                            // 2 wait states required before reading vgpr

/* rC *= alpha batchElements=[(1, 0, 0, 0), (1, 1, 0, 0), (1, 2, 0, 0), (1, 3, 0, 0)] */
v_mul_lo_u32 v[vgprValuC+12], s[sgprAlpha], v[vgprValuC+12] // *= alpha
v_mul_lo_u32 v[vgprValuC+13], s[sgprAlpha], v[vgprValuC+13] // *= alpha
	;; [unrolled: 1-line block ×16, first 2 shown]

/* apply mask, calc new C and issue writes */

/* StoreRemap: shift coord1 address */
s_mul_i32 s76, s[sgprStrideD1J], 256               // scale StrideD *= numRows(64) * bpe
s_add_u32  s[sgprSrdD+0], s[sgprSrdD+0], s76       // incToNextRow: gra SRD += inc(lower)
s_addc_u32  s[sgprSrdD+1], s[sgprSrdD+1], 0        // incToNextRow: gra SRD += inc(upper)
v_mov_b32 v10, 64                                  // set shift rows
_v_add_u32 v5, v5, v10                             // shift storeRemap coord1
_ds_store_b128 v7, v[12:15], offset:0              // storeRemap lw
_ds_store_b128 v7, v[20:23], offset:32             // storeRemap lw
_ds_store_b128 v7, v[44:47], offset:64             // storeRemap lw
	;; [unrolled: 1-line block ×3, first 2 shown]

/* Handle local read and global write */
s_waitcnt lgkmcnt(0)                               // wait for LDS write
s_barrier //wait all lds write finished

_ds_load_b128 v[12:15], v8, offset:0               // storeRemap lr
_ds_load_b128 v[16:19], v8, offset:1088            // storeRemap lr
_ds_load_b128 v[20:23], v8, offset:2176            // storeRemap lr
	;; [unrolled: 1-line block ×3, first 2 shown]

s_waitcnt lgkmcnt(3)                               // wait for LDS read
_v_add_u32 v11, v5, 0                              // coord1 += nColPerLoad
_v_add_u32 v10, v4, 0                              // coord0 += element index of load vector
_v_add_u32 v9, v6, 0                               // offset coord1 += nColPerLoad
v_cmp_lt_u32 s[76:77], v10, s[sgprSizeI]           // coord0 < size0
v_cmp_lt_u32 s[78:79], v11, s[sgprSizeJ]           // coord1 < size1
s_and_b64 s[78:79], s[76:77], s[78:79]             // in0 && in1
v_mul_lo_u32 v9, v9, s[sgprStrideD1J]              // coord1 element offset =  coord1 * StrideD
_v_add_lshl_u32 v9, v9, v10, 0x2                   // scale to BPE
v_cndmask_b32 v9, -1, v9, s[78:79]                 // clip if OOB. offset
_buffer_store_b128 v[12:15], v9, s[sgprSrdD:sgprSrdD+3], 0, offen, offset:0 // store D
s_waitcnt lgkmcnt(2)                               // wait for LDS read
_v_add_u32 v11, v5, 4                              // coord1 += nColPerLoad
_v_add_u32 v10, v4, 0                              // coord0 += element index of load vector
_v_add_u32 v9, v6, 4                               // offset coord1 += nColPerLoad
v_cmp_lt_u32 s[76:77], v10, s[sgprSizeI]           // coord0 < size0
v_cmp_lt_u32 s[78:79], v11, s[sgprSizeJ]           // coord1 < size1
s_and_b64 s[78:79], s[76:77], s[78:79]             // in0 && in1
v_mul_lo_u32 v9, v9, s[sgprStrideD1J]              // coord1 element offset =  coord1 * StrideD
_v_add_lshl_u32 v9, v9, v10, 0x2                   // scale to BPE
v_cndmask_b32 v9, -1, v9, s[78:79]                 // clip if OOB. offset
_buffer_store_b128 v[16:19], v9, s[sgprSrdD:sgprSrdD+3], 0, offen, offset:0 // store D
	;; [unrolled: 11-line block ×3, first 2 shown]
s_waitcnt lgkmcnt(0)                               // wait for LDS read
_v_add_u32 v11, v5, 12                             // coord1 += nColPerLoad
_v_add_u32 v10, v4, 0                              // coord0 += element index of load vector
_v_add_u32 v9, v6, 12                              // offset coord1 += nColPerLoad
v_cmp_lt_u32 s[76:77], v10, s[sgprSizeI]           // coord0 < size0
v_cmp_lt_u32 s[78:79], v11, s[sgprSizeJ]           // coord1 < size1
s_and_b64 s[78:79], s[76:77], s[78:79]             // in0 && in1
v_mul_lo_u32 v9, v9, s[sgprStrideD1J]              // coord1 element offset =  coord1 * StrideD
_v_add_lshl_u32 v9, v9, v10, 0x2                   // scale to BPE
v_cndmask_b32 v9, -1, v9, s[78:79]                 // clip if OOB. offset
_buffer_store_b128 v[44:47], v9, s[sgprSrdD:sgprSrdD+3], 0, offen, offset:0 // store D

s_barrier //wait all lds read finished
s_nop 0                                            // 1 wait state required when next inst writes vgprs held by previous dwordx4 store inst
s_mov_b32 s[sgprPreLoopLWVmcntCase], 0x3           // for optimizing next PreLoop LW vmcnt, set to Case3
s_branch label_GW_End_53                           // jump to end
GW_Beta_54:
s_and_b32 s76, 63, s[sgprSizeI]                    // s76 = s[sgprSizeI] % 64
s_add_u32 s77, -0x1, s[sgprNumWorkGroups0]         // 
s_cmp_ge_u32 s[sgprPrevWorkGroup0], s77            // wg0 >= nwg0-1 ?
s_cselect_b32 s76, s76, 0                          // set rMT0
s_cmpk_gt_u32 s76, 0x0                             // rMT0 > 0
s_cbranch_scc1 GW_B1_E1_52                         // jump if edges required
s_and_b32 s76, 127, s[sgprSizeJ]                   // s76 = s[sgprSizeJ] % 128
s_add_u32 s77, -0x1, s[sgprNumWorkGroups1]         // 
s_cmp_ge_u32 s[sgprPrevWorkGroup1], s77            // wg1 >= nwg1-1
s_cselect_b32 s76, s76, 0                          // set rMT1
s_cmpk_gt_u32 s76, 0x0                             // rMT1 > 0
s_cbranch_scc1 GW_B1_E1_52                         // jump if edges required
GW_B1_E0_49:

/* edge=0, allocate 2 sgpr. perBatchTmpS=2 perBatchMaskS=0 perElementMaskS=0 elementsPerBatch=4 */
/* optSingleColVgpr=1 optSharedColVgpr=0 optSGPRUsage=BufferLoad_Mask optSrdIncForRow=1 */

/******************************************/
/* Global Write Alpha Beta Batch #0 (d1,d0,vc1,vc0) = */
/*    (0,0,0,0:vw4); (0,1,0,0:vw4); (0,2,0,0:vw4); (0,3,0,0:vw4) */
/******************************************/

/* calc coords, apply mask, and issue loads (if necessary) */
/* (d1,vc1,d0,vc0)=(0,0,0,0) */
_v_add_lshl_u32 v12, v2, v0, 0x2                   // optSingleColVgpr scaleToBpe: sharedAddrVgpr <- cinRowPtr + coord0, scaled by BPE. BSHERE:coord0=0, coord0Vgpr=0
_buffer_load_b128 v[16:19], v12, s[sgprSrdC:sgprSrdC+3], 0, offen offset:0 // load C for beta calc
/* (d1,vc1,d0,vc0)=(0,0,1,0) */
_buffer_load_b128 v[44:47], v12, s[sgprSrdC:sgprSrdC+3], 0, offen offset:32 // load C for beta calc
/* (d1,vc1,d0,vc0)=(0,0,2,0) */
	;; [unrolled: 2-line block ×3, first 2 shown]
_buffer_load_b128 v[60:63], v12, s[sgprSrdC:sgprSrdC+3], 0, offen offset:96 // load C for beta calc
_v_add_lshl_u32 v9, v3, v0, 0x2                    // optSingleColVgpr scaleToBpe: sharedAddrVgpr <- cinRowPtr + coord0, scaled by BPE. BSHERE:coord0=0, coord0Vgpr=0
v_accvgpr_read_b32 v[vgprValuC+20], acc0 // copy acc to vreg[0]
v_accvgpr_read_b32 v[vgprValuC+21], acc1 // copy acc to vreg[1]
v_accvgpr_read_b32 v[vgprValuC+22], acc2 // copy acc to vreg[2]
v_accvgpr_read_b32 v[vgprValuC+23], acc3 // copy acc to vreg[3]
v_accvgpr_read_b32 v[vgprValuC+48], acc4 // copy acc to vreg[4]
v_accvgpr_read_b32 v[vgprValuC+49], acc5 // copy acc to vreg[5]
v_accvgpr_read_b32 v[vgprValuC+50], acc6 // copy acc to vreg[6]
v_accvgpr_read_b32 v[vgprValuC+51], acc7 // copy acc to vreg[7]
v_accvgpr_read_b32 v[vgprValuC+56], acc8 // copy acc to vreg[8]
v_accvgpr_read_b32 v[vgprValuC+57], acc9 // copy acc to vreg[9]
v_accvgpr_read_b32 v[vgprValuC+58], acc10 // copy acc to vreg[10]
v_accvgpr_read_b32 v[vgprValuC+59], acc11 // copy acc to vreg[11]
v_accvgpr_read_b32 v[vgprValuC+64], acc12 // copy acc to vreg[12]
v_accvgpr_read_b32 v[vgprValuC+65], acc13 // copy acc to vreg[13]
v_accvgpr_read_b32 v[vgprValuC+66], acc14 // copy acc to vreg[14]
v_accvgpr_read_b32 v[vgprValuC+67], acc15 // copy acc to vreg[15]
s_nop 1                                            // 2 wait states required before reading vgpr

/* rC *= alpha batchElements=[(0, 0, 0, 0), (0, 1, 0, 0), (0, 2, 0, 0), (0, 3, 0, 0)] */
v_mul_lo_u32 v[vgprValuC+20], s[sgprAlpha], v[vgprValuC+20] // *= alpha
v_mul_lo_u32 v[vgprValuC+21], s[sgprAlpha], v[vgprValuC+21] // *= alpha
	;; [unrolled: 1-line block ×16, first 2 shown]

/* apply mask, calc new C and issue writes */

s_waitcnt vmcnt(3)                                 // wait C (interleaved) 3 = 4 - 0 + 0 - 1
v_mul_lo_u32 v16, s[sgprBeta], v16                 // C = C*beta
_v_add_u32 v[vgprValuC+20], v16, v[vgprValuC+20]   // finalSum = sum*alpha + C*beta
v_mul_lo_u32 v17, s[sgprBeta], v17                 // C = C*beta
_v_add_u32 v[vgprValuC+21], v17, v[vgprValuC+21]   // finalSum = sum*alpha + C*beta
	;; [unrolled: 2-line block ×4, first 2 shown]
_ds_store_b128 v7, v[20:23], offset:0              // storeRemap lw

s_waitcnt vmcnt(2)                                 // wait C (interleaved) 2 = 4 - 1 + 0 - 1
v_mul_lo_u32 v44, s[sgprBeta], v44                 // C = C*beta
_v_add_u32 v[vgprValuC+48], v44, v[vgprValuC+48]   // finalSum = sum*alpha + C*beta
v_mul_lo_u32 v45, s[sgprBeta], v45                 // C = C*beta
_v_add_u32 v[vgprValuC+49], v45, v[vgprValuC+49]   // finalSum = sum*alpha + C*beta
v_mul_lo_u32 v46, s[sgprBeta], v46                 // C = C*beta
_v_add_u32 v[vgprValuC+50], v46, v[vgprValuC+50]   // finalSum = sum*alpha + C*beta
v_mul_lo_u32 v47, s[sgprBeta], v47                 // C = C*beta
_v_add_u32 v[vgprValuC+51], v47, v[vgprValuC+51]   // finalSum = sum*alpha + C*beta
_ds_store_b128 v7, v[48:51], offset:32             // storeRemap lw

s_waitcnt vmcnt(1)                                 // wait C (interleaved) 1 = 4 - 2 + 0 - 1
v_mul_lo_u32 v52, s[sgprBeta], v52                 // C = C*beta
_v_add_u32 v[vgprValuC+56], v52, v[vgprValuC+56]   // finalSum = sum*alpha + C*beta
v_mul_lo_u32 v53, s[sgprBeta], v53                 // C = C*beta
_v_add_u32 v[vgprValuC+57], v53, v[vgprValuC+57]   // finalSum = sum*alpha + C*beta
v_mul_lo_u32 v54, s[sgprBeta], v54                 // C = C*beta
_v_add_u32 v[vgprValuC+58], v54, v[vgprValuC+58]   // finalSum = sum*alpha + C*beta
v_mul_lo_u32 v55, s[sgprBeta], v55                 // C = C*beta
_v_add_u32 v[vgprValuC+59], v55, v[vgprValuC+59]   // finalSum = sum*alpha + C*beta
_ds_store_b128 v7, v[56:59], offset:64             // storeRemap lw
	;; [unrolled: 11-line block ×3, first 2 shown]

/* Handle local read and global write */
s_waitcnt lgkmcnt(0)                               // wait for LDS write
s_barrier //wait all lds write finished

_ds_load_b128 v[16:19], v8, offset:0               // storeRemap lr
_ds_load_b128 v[20:23], v8, offset:1088            // storeRemap lr
_ds_load_b128 v[44:47], v8, offset:2176            // storeRemap lr
	;; [unrolled: 1-line block ×3, first 2 shown]

v_mov_b32 v13, v6                                  // coord1
v_mul_lo_u32 v13, v13, s[sgprStrideD1J]            // coord1 offset =  coord1 * StrideD
_v_add_lshl_u32 v13, v13, v4, 0x2                  // global write D address
s_waitcnt lgkmcnt(3)                               // wait for LDS read
_buffer_store_b128 v[16:19], v13, s[sgprSrdD:sgprSrdD+3], 0, offen, offset:0 // store D
_v_add_u32 v13, v6, 4                              // coord1 += nColPerLoad
v_mul_lo_u32 v13, v13, s[sgprStrideD1J]            // coord1 offset =  coord1 * StrideD
_v_add_lshl_u32 v13, v13, v4, 0x2                  // global write D address
s_waitcnt lgkmcnt(2)                               // wait for LDS read
_buffer_store_b128 v[20:23], v13, s[sgprSrdD:sgprSrdD+3], 0, offen, offset:0 // store D
_v_add_u32 v13, v6, 8                              // coord1 += nColPerLoad
v_mul_lo_u32 v13, v13, s[sgprStrideD1J]            // coord1 offset =  coord1 * StrideD
_v_add_lshl_u32 v13, v13, v4, 0x2                  // global write D address
s_waitcnt lgkmcnt(1)                               // wait for LDS read
_buffer_store_b128 v[44:47], v13, s[sgprSrdD:sgprSrdD+3], 0, offen, offset:0 // store D
_v_add_u32 v13, v6, 12                             // coord1 += nColPerLoad
v_mul_lo_u32 v13, v13, s[sgprStrideD1J]            // coord1 offset =  coord1 * StrideD
_v_add_lshl_u32 v13, v13, v4, 0x2                  // global write D address
s_waitcnt lgkmcnt(0)                               // wait for LDS read
_buffer_store_b128 v[48:51], v13, s[sgprSrdD:sgprSrdD+3], 0, offen, offset:0 // store D

s_barrier //wait all lds read finished
s_nop 0                                            // 1 wait state required when next inst writes vgprs held by previous dwordx4 store inst
/* optSingleColVgpr=1 optSharedColVgpr=0 optSGPRUsage=BufferLoad_Mask optSrdIncForRow=1 */

/******************************************/
/* Global Write Alpha Beta Batch #1 (d1,d0,vc1,vc0) = */
/*    (1,0,0,0:vw4); (1,1,0,0:vw4); (1,2,0,0:vw4); (1,3,0,0:vw4) */
/******************************************/

/* calc coords, apply mask, and issue loads (if necessary) */
/* (d1,vc1,d0,vc0)=(1,0,0,0) */
s_mul_i32 s76, s[sgprStrideC1J], 256               // scale StrideC *= numRows(64) * bpe
s_add_u32  s[sgprSrdC+0], s[sgprSrdC+0], s76       // incToNextRow: gra SRD += inc(lower)
s_addc_u32  s[sgprSrdC+1], s[sgprSrdC+1], 0        // incToNextRow: gra SRD += inc(upper)
_buffer_load_b128 v[16:19], v12, s[sgprSrdC:sgprSrdC+3], 0, offen offset:0 // load C for beta calc
/* (d1,vc1,d0,vc0)=(1,0,1,0) */
_buffer_load_b128 v[44:47], v12, s[sgprSrdC:sgprSrdC+3], 0, offen offset:32 // load C for beta calc
/* (d1,vc1,d0,vc0)=(1,0,2,0) */
	;; [unrolled: 2-line block ×3, first 2 shown]
_buffer_load_b128 v[60:63], v12, s[sgprSrdC:sgprSrdC+3], 0, offen offset:96 // load C for beta calc
v_accvgpr_read_b32 v[vgprValuC+20], acc16 // copy acc to vreg[16]
v_accvgpr_read_b32 v[vgprValuC+21], acc17 // copy acc to vreg[17]
v_accvgpr_read_b32 v[vgprValuC+22], acc18 // copy acc to vreg[18]
v_accvgpr_read_b32 v[vgprValuC+23], acc19 // copy acc to vreg[19]
v_accvgpr_read_b32 v[vgprValuC+48], acc20 // copy acc to vreg[20]
v_accvgpr_read_b32 v[vgprValuC+49], acc21 // copy acc to vreg[21]
v_accvgpr_read_b32 v[vgprValuC+50], acc22 // copy acc to vreg[22]
v_accvgpr_read_b32 v[vgprValuC+51], acc23 // copy acc to vreg[23]
v_accvgpr_read_b32 v[vgprValuC+56], acc24 // copy acc to vreg[24]
v_accvgpr_read_b32 v[vgprValuC+57], acc25 // copy acc to vreg[25]
v_accvgpr_read_b32 v[vgprValuC+58], acc26 // copy acc to vreg[26]
v_accvgpr_read_b32 v[vgprValuC+59], acc27 // copy acc to vreg[27]
v_accvgpr_read_b32 v[vgprValuC+64], acc28 // copy acc to vreg[28]
v_accvgpr_read_b32 v[vgprValuC+65], acc29 // copy acc to vreg[29]
v_accvgpr_read_b32 v[vgprValuC+66], acc30 // copy acc to vreg[30]
v_accvgpr_read_b32 v[vgprValuC+67], acc31 // copy acc to vreg[31]
s_nop 1                                            // 2 wait states required before reading vgpr

/* rC *= alpha batchElements=[(1, 0, 0, 0), (1, 1, 0, 0), (1, 2, 0, 0), (1, 3, 0, 0)] */
v_mul_lo_u32 v[vgprValuC+20], s[sgprAlpha], v[vgprValuC+20] // *= alpha
v_mul_lo_u32 v[vgprValuC+21], s[sgprAlpha], v[vgprValuC+21] // *= alpha
	;; [unrolled: 1-line block ×16, first 2 shown]

/* apply mask, calc new C and issue writes */

/* StoreRemap: shift coord1 address */
s_mul_i32 s76, s[sgprStrideD1J], 256               // scale StrideD *= numRows(64) * bpe
s_add_u32  s[sgprSrdD+0], s[sgprSrdD+0], s76       // incToNextRow: gra SRD += inc(lower)
s_addc_u32  s[sgprSrdD+1], s[sgprSrdD+1], 0        // incToNextRow: gra SRD += inc(upper)
v_mov_b32 v10, 64                                  // set shift rows
_v_add_u32 v5, v5, v10                             // shift storeRemap coord1

s_waitcnt vmcnt(3)                                 // wait C (interleaved) 3 = 4 - 0 + 0 - 1
v_mul_lo_u32 v16, s[sgprBeta], v16                 // C = C*beta
_v_add_u32 v[vgprValuC+20], v16, v[vgprValuC+20]   // finalSum = sum*alpha + C*beta
v_mul_lo_u32 v17, s[sgprBeta], v17                 // C = C*beta
_v_add_u32 v[vgprValuC+21], v17, v[vgprValuC+21]   // finalSum = sum*alpha + C*beta
	;; [unrolled: 2-line block ×4, first 2 shown]
_ds_store_b128 v7, v[20:23], offset:0              // storeRemap lw

s_waitcnt vmcnt(2)                                 // wait C (interleaved) 2 = 4 - 1 + 0 - 1
v_mul_lo_u32 v44, s[sgprBeta], v44                 // C = C*beta
_v_add_u32 v[vgprValuC+48], v44, v[vgprValuC+48]   // finalSum = sum*alpha + C*beta
v_mul_lo_u32 v45, s[sgprBeta], v45                 // C = C*beta
_v_add_u32 v[vgprValuC+49], v45, v[vgprValuC+49]   // finalSum = sum*alpha + C*beta
v_mul_lo_u32 v46, s[sgprBeta], v46                 // C = C*beta
_v_add_u32 v[vgprValuC+50], v46, v[vgprValuC+50]   // finalSum = sum*alpha + C*beta
v_mul_lo_u32 v47, s[sgprBeta], v47                 // C = C*beta
_v_add_u32 v[vgprValuC+51], v47, v[vgprValuC+51]   // finalSum = sum*alpha + C*beta
_ds_store_b128 v7, v[48:51], offset:32             // storeRemap lw

s_waitcnt vmcnt(1)                                 // wait C (interleaved) 1 = 4 - 2 + 0 - 1
v_mul_lo_u32 v52, s[sgprBeta], v52                 // C = C*beta
_v_add_u32 v[vgprValuC+56], v52, v[vgprValuC+56]   // finalSum = sum*alpha + C*beta
v_mul_lo_u32 v53, s[sgprBeta], v53                 // C = C*beta
_v_add_u32 v[vgprValuC+57], v53, v[vgprValuC+57]   // finalSum = sum*alpha + C*beta
v_mul_lo_u32 v54, s[sgprBeta], v54                 // C = C*beta
_v_add_u32 v[vgprValuC+58], v54, v[vgprValuC+58]   // finalSum = sum*alpha + C*beta
v_mul_lo_u32 v55, s[sgprBeta], v55                 // C = C*beta
_v_add_u32 v[vgprValuC+59], v55, v[vgprValuC+59]   // finalSum = sum*alpha + C*beta
_ds_store_b128 v7, v[56:59], offset:64             // storeRemap lw
	;; [unrolled: 11-line block ×3, first 2 shown]

/* Handle local read and global write */
s_waitcnt lgkmcnt(0)                               // wait for LDS write
s_barrier //wait all lds write finished

_ds_load_b128 v[16:19], v8, offset:0               // storeRemap lr
_ds_load_b128 v[20:23], v8, offset:1088            // storeRemap lr
_ds_load_b128 v[44:47], v8, offset:2176            // storeRemap lr
	;; [unrolled: 1-line block ×3, first 2 shown]

v_mov_b32 v13, v6                                  // coord1
v_mul_lo_u32 v13, v13, s[sgprStrideD1J]            // coord1 offset =  coord1 * StrideD
_v_add_lshl_u32 v13, v13, v4, 0x2                  // global write D address
s_waitcnt lgkmcnt(3)                               // wait for LDS read
_buffer_store_b128 v[16:19], v13, s[sgprSrdD:sgprSrdD+3], 0, offen, offset:0 // store D
_v_add_u32 v13, v6, 4                              // coord1 += nColPerLoad
v_mul_lo_u32 v13, v13, s[sgprStrideD1J]            // coord1 offset =  coord1 * StrideD
_v_add_lshl_u32 v13, v13, v4, 0x2                  // global write D address
s_waitcnt lgkmcnt(2)                               // wait for LDS read
_buffer_store_b128 v[20:23], v13, s[sgprSrdD:sgprSrdD+3], 0, offen, offset:0 // store D
_v_add_u32 v13, v6, 8                              // coord1 += nColPerLoad
v_mul_lo_u32 v13, v13, s[sgprStrideD1J]            // coord1 offset =  coord1 * StrideD
_v_add_lshl_u32 v13, v13, v4, 0x2                  // global write D address
s_waitcnt lgkmcnt(1)                               // wait for LDS read
_buffer_store_b128 v[44:47], v13, s[sgprSrdD:sgprSrdD+3], 0, offen, offset:0 // store D
_v_add_u32 v13, v6, 12                             // coord1 += nColPerLoad
v_mul_lo_u32 v13, v13, s[sgprStrideD1J]            // coord1 offset =  coord1 * StrideD
_v_add_lshl_u32 v13, v13, v4, 0x2                  // global write D address
s_waitcnt lgkmcnt(0)                               // wait for LDS read
_buffer_store_b128 v[48:51], v13, s[sgprSrdD:sgprSrdD+3], 0, offen, offset:0 // store D

s_barrier //wait all lds read finished
s_nop 0                                            // 1 wait state required when next inst writes vgprs held by previous dwordx4 store inst
s_mov_b32 s[sgprPreLoopLWVmcntCase], 0x4           // for optimizing next PreLoop LW vmcnt, set to Case4
s_branch label_GW_End_53                           // jump to end
GW_B1_E1_52:

/* edge=1, allocate 6 sgpr. perBatchTmpS=4 perBatchMaskS=2 perElementMaskS=0 elementsPerBatch=4 */
/* optSingleColVgpr=0 optSharedColVgpr=0 optSGPRUsage=BufferLoad_Edge_Mask optSrdIncForRow=1 */

/******************************************/
/* Global Write Alpha Beta Edge Batch #0 (d1,d0,vc1,vc0) = */
/*    (0,0,0,0:vw4); (0,1,0,0:vw4); (0,2,0,0:vw4); (0,3,0,0:vw4) */
/******************************************/

/* calc coords, apply mask, and issue loads (if necessary) */
/* (d1,vc1,d0,vc0)=(0,0,0,0) */
v_cmp_lt_u32 s[76:77], v0, s[sgprSizeI]            // coord0 < size0
v_cmp_lt_u32 s[80:81], v1, s[sgprSizeJ]            // coord1 < size1
s_and_b64 s[80:81], s[76:77], s[80:81]             // in0 && in1
_v_add_lshl_u32 v9, v2, v0, 0x2                    // scaleToBpe: accumulate d0 lower and *= bpe into Cin addr
v_cndmask_b32 v9, -1, v9, s[80:81]                 // LDC clip if OOB. offset
_buffer_load_b128 v[12:15], v9, s[sgprSrdC:sgprSrdC+3], 0, offen offset:0 // load C for beta calc
_v_add_lshl_u32 v9, v3, v0, 0x2                    // scaleToBpe: accumulate d0 lower and *= bpe into Cin addr
v_cndmask_b32 v9, -1, v9, s[80:81]                 // LDD clip if OOB. offset
/* (d1,vc1,d0,vc0)=(0,0,1,0) */
_v_add_co_u32 v10, vcc, v0, 8                      // coord0.1: coord0 += d0*sg0*VW + vc0
v_cmp_lt_u32 s[76:77], v10, s[sgprSizeI]           // coord0 < size0
v_cmp_lt_u32 s[80:81], v1, s[sgprSizeJ]            // coord1 < size1
s_and_b64 s[80:81], s[76:77], s[80:81]             // in0 && in1
_v_add_lshl_u32 v20, v2, v10, 0x2                  // scaleToBpe: accumulate d0 lower and *= bpe into Cin addr
v_cndmask_b32 v20, -1, v20, s[80:81]               // LDC clip if OOB. offset
_buffer_load_b128 v[44:47], v20, s[sgprSrdC:sgprSrdC+3], 0, offen offset:0 // load C for beta calc
_v_add_lshl_u32 v20, v3, v10, 0x2                  // scaleToBpe: accumulate d0 lower and *= bpe into Cin addr
v_cndmask_b32 v20, -1, v20, s[80:81]               // LDD clip if OOB. offset
/* (d1,vc1,d0,vc0)=(0,0,2,0) */
_v_add_co_u32 v10, vcc, v0, 16                     // coord0.1: coord0 += d0*sg0*VW + vc0
v_cmp_lt_u32 s[76:77], v10, s[sgprSizeI]           // coord0 < size0
v_cmp_lt_u32 s[80:81], v1, s[sgprSizeJ]            // coord1 < size1
s_and_b64 s[80:81], s[76:77], s[80:81]             // in0 && in1
_v_add_lshl_u32 v21, v2, v10, 0x2                  // scaleToBpe: accumulate d0 lower and *= bpe into Cin addr
v_cndmask_b32 v21, -1, v21, s[80:81]               // LDC clip if OOB. offset
_buffer_load_b128 v[52:55], v21, s[sgprSrdC:sgprSrdC+3], 0, offen offset:0 // load C for beta calc
_v_add_lshl_u32 v21, v3, v10, 0x2                  // scaleToBpe: accumulate d0 lower and *= bpe into Cin addr
v_cndmask_b32 v21, -1, v21, s[80:81]               // LDD clip if OOB. offset
/* (d1,vc1,d0,vc0)=(0,0,3,0) */
_v_add_co_u32 v10, vcc, v0, 24                     // coord0.1: coord0 += d0*sg0*VW + vc0
v_cmp_lt_u32 s[76:77], v10, s[sgprSizeI]           // coord0 < size0
v_cmp_lt_u32 s[80:81], v1, s[sgprSizeJ]            // coord1 < size1
s_and_b64 s[80:81], s[76:77], s[80:81]             // in0 && in1
_v_add_lshl_u32 v22, v2, v10, 0x2                  // scaleToBpe: accumulate d0 lower and *= bpe into Cin addr
v_cndmask_b32 v22, -1, v22, s[80:81]               // LDC clip if OOB. offset
_buffer_load_b128 v[60:63], v22, s[sgprSrdC:sgprSrdC+3], 0, offen offset:0 // load C for beta calc
_v_add_lshl_u32 v22, v3, v10, 0x2                  // scaleToBpe: accumulate d0 lower and *= bpe into Cin addr
v_cndmask_b32 v22, -1, v22, s[80:81]               // LDD clip if OOB. offset
v_accvgpr_read_b32 v[vgprValuC+16], acc0 // copy acc to vreg[0]
v_accvgpr_read_b32 v[vgprValuC+17], acc1 // copy acc to vreg[1]
v_accvgpr_read_b32 v[vgprValuC+18], acc2 // copy acc to vreg[2]
v_accvgpr_read_b32 v[vgprValuC+19], acc3 // copy acc to vreg[3]
v_accvgpr_read_b32 v[vgprValuC+48], acc4 // copy acc to vreg[4]
v_accvgpr_read_b32 v[vgprValuC+49], acc5 // copy acc to vreg[5]
v_accvgpr_read_b32 v[vgprValuC+50], acc6 // copy acc to vreg[6]
v_accvgpr_read_b32 v[vgprValuC+51], acc7 // copy acc to vreg[7]
v_accvgpr_read_b32 v[vgprValuC+56], acc8 // copy acc to vreg[8]
v_accvgpr_read_b32 v[vgprValuC+57], acc9 // copy acc to vreg[9]
v_accvgpr_read_b32 v[vgprValuC+58], acc10 // copy acc to vreg[10]
v_accvgpr_read_b32 v[vgprValuC+59], acc11 // copy acc to vreg[11]
v_accvgpr_read_b32 v[vgprValuC+64], acc12 // copy acc to vreg[12]
v_accvgpr_read_b32 v[vgprValuC+65], acc13 // copy acc to vreg[13]
v_accvgpr_read_b32 v[vgprValuC+66], acc14 // copy acc to vreg[14]
v_accvgpr_read_b32 v[vgprValuC+67], acc15 // copy acc to vreg[15]
s_nop 1                                            // 2 wait states required before reading vgpr

/* rC *= alpha batchElements=[(0, 0, 0, 0), (0, 1, 0, 0), (0, 2, 0, 0), (0, 3, 0, 0)] */
v_mul_lo_u32 v[vgprValuC+16], s[sgprAlpha], v[vgprValuC+16] // *= alpha
v_mul_lo_u32 v[vgprValuC+17], s[sgprAlpha], v[vgprValuC+17] // *= alpha
	;; [unrolled: 1-line block ×16, first 2 shown]
s_waitcnt vmcnt(0)                                 // wait C

/* apply mask, calc new C and issue writes */
v_mul_lo_u32 v12, s[sgprBeta], v12                 // C = C*beta
_v_add_u32 v[vgprValuC+16], v12, v[vgprValuC+16]   // finalSum = sum*alpha + C*beta
v_mul_lo_u32 v13, s[sgprBeta], v13                 // C = C*beta
_v_add_u32 v[vgprValuC+17], v13, v[vgprValuC+17]   // finalSum = sum*alpha + C*beta
	;; [unrolled: 2-line block ×4, first 2 shown]
_ds_store_b128 v7, v[16:19], offset:0              // storeRemap lw
v_mul_lo_u32 v44, s[sgprBeta], v44                 // C = C*beta
_v_add_u32 v[vgprValuC+48], v44, v[vgprValuC+48]   // finalSum = sum*alpha + C*beta
v_mul_lo_u32 v45, s[sgprBeta], v45                 // C = C*beta
_v_add_u32 v[vgprValuC+49], v45, v[vgprValuC+49]   // finalSum = sum*alpha + C*beta
v_mul_lo_u32 v46, s[sgprBeta], v46                 // C = C*beta
_v_add_u32 v[vgprValuC+50], v46, v[vgprValuC+50]   // finalSum = sum*alpha + C*beta
v_mul_lo_u32 v47, s[sgprBeta], v47                 // C = C*beta
_v_add_u32 v[vgprValuC+51], v47, v[vgprValuC+51]   // finalSum = sum*alpha + C*beta
_ds_store_b128 v7, v[48:51], offset:32             // storeRemap lw
v_mul_lo_u32 v52, s[sgprBeta], v52                 // C = C*beta
_v_add_u32 v[vgprValuC+56], v52, v[vgprValuC+56]   // finalSum = sum*alpha + C*beta
v_mul_lo_u32 v53, s[sgprBeta], v53                 // C = C*beta
_v_add_u32 v[vgprValuC+57], v53, v[vgprValuC+57]   // finalSum = sum*alpha + C*beta
v_mul_lo_u32 v54, s[sgprBeta], v54                 // C = C*beta
_v_add_u32 v[vgprValuC+58], v54, v[vgprValuC+58]   // finalSum = sum*alpha + C*beta
v_mul_lo_u32 v55, s[sgprBeta], v55                 // C = C*beta
_v_add_u32 v[vgprValuC+59], v55, v[vgprValuC+59]   // finalSum = sum*alpha + C*beta
_ds_store_b128 v7, v[56:59], offset:64             // storeRemap lw
	;; [unrolled: 9-line block ×3, first 2 shown]

/* Handle local read and global write */
s_waitcnt lgkmcnt(0)                               // wait for LDS write
s_barrier //wait all lds write finished

_ds_load_b128 v[12:15], v8, offset:0               // storeRemap lr
_ds_load_b128 v[16:19], v8, offset:1088            // storeRemap lr
_ds_load_b128 v[20:23], v8, offset:2176            // storeRemap lr
_ds_load_b128 v[44:47], v8, offset:3264            // storeRemap lr

s_waitcnt lgkmcnt(3)                               // wait for LDS read
_v_add_u32 v11, v5, 0                              // coord1 += nColPerLoad
_v_add_u32 v10, v4, 0                              // coord0 += element index of load vector
_v_add_u32 v9, v6, 0                               // offset coord1 += nColPerLoad
v_cmp_lt_u32 s[76:77], v10, s[sgprSizeI]           // coord0 < size0
v_cmp_lt_u32 s[78:79], v11, s[sgprSizeJ]           // coord1 < size1
s_and_b64 s[78:79], s[76:77], s[78:79]             // in0 && in1
v_mul_lo_u32 v9, v9, s[sgprStrideD1J]              // coord1 element offset =  coord1 * StrideD
_v_add_lshl_u32 v9, v9, v10, 0x2                   // scale to BPE
v_cndmask_b32 v9, -1, v9, s[78:79]                 // clip if OOB. offset
_buffer_store_b128 v[12:15], v9, s[sgprSrdD:sgprSrdD+3], 0, offen, offset:0 // store D
s_waitcnt lgkmcnt(2)                               // wait for LDS read
_v_add_u32 v11, v5, 4                              // coord1 += nColPerLoad
_v_add_u32 v10, v4, 0                              // coord0 += element index of load vector
_v_add_u32 v9, v6, 4                               // offset coord1 += nColPerLoad
v_cmp_lt_u32 s[76:77], v10, s[sgprSizeI]           // coord0 < size0
v_cmp_lt_u32 s[78:79], v11, s[sgprSizeJ]           // coord1 < size1
s_and_b64 s[78:79], s[76:77], s[78:79]             // in0 && in1
v_mul_lo_u32 v9, v9, s[sgprStrideD1J]              // coord1 element offset =  coord1 * StrideD
_v_add_lshl_u32 v9, v9, v10, 0x2                   // scale to BPE
v_cndmask_b32 v9, -1, v9, s[78:79]                 // clip if OOB. offset
_buffer_store_b128 v[16:19], v9, s[sgprSrdD:sgprSrdD+3], 0, offen, offset:0 // store D
	;; [unrolled: 11-line block ×3, first 2 shown]
s_waitcnt lgkmcnt(0)                               // wait for LDS read
_v_add_u32 v11, v5, 12                             // coord1 += nColPerLoad
_v_add_u32 v10, v4, 0                              // coord0 += element index of load vector
_v_add_u32 v9, v6, 12                              // offset coord1 += nColPerLoad
v_cmp_lt_u32 s[76:77], v10, s[sgprSizeI]           // coord0 < size0
v_cmp_lt_u32 s[78:79], v11, s[sgprSizeJ]           // coord1 < size1
s_and_b64 s[78:79], s[76:77], s[78:79]             // in0 && in1
v_mul_lo_u32 v9, v9, s[sgprStrideD1J]              // coord1 element offset =  coord1 * StrideD
_v_add_lshl_u32 v9, v9, v10, 0x2                   // scale to BPE
v_cndmask_b32 v9, -1, v9, s[78:79]                 // clip if OOB. offset
_buffer_store_b128 v[44:47], v9, s[sgprSrdD:sgprSrdD+3], 0, offen, offset:0 // store D

s_barrier //wait all lds read finished
s_nop 0                                            // 1 wait state required when next inst writes vgprs held by previous dwordx4 store inst
/* optSingleColVgpr=0 optSharedColVgpr=0 optSGPRUsage=BufferLoad_Edge_Mask optSrdIncForRow=1 */

/******************************************/
/* Global Write Alpha Beta Edge Batch #1 (d1,d0,vc1,vc0) = */
/*    (1,0,0,0:vw4); (1,1,0,0:vw4); (1,2,0,0:vw4); (1,3,0,0:vw4) */
/******************************************/

/* calc coords, apply mask, and issue loads (if necessary) */
/* (d1,vc1,d0,vc0)=(1,0,0,0) */
_v_add_co_u32 v1, vcc, v1, 64                      // coord1.1: coord1Vgpr += d1*sg1*VW + vc1
v_cmp_lt_u32 s[76:77], v0, s[sgprSizeI]            // coord0 < size0
v_cmp_lt_u32 s[80:81], v1, s[sgprSizeJ]            // coord1 < size1
s_and_b64 s[80:81], s[76:77], s[80:81]             // in0 && in1
_v_add_lshl_u32 v9, v2, v0, 0x2                    // scaleToBpe: accumulate d0 lower and *= bpe into Cin addr
v_cndmask_b32 v9, -1, v9, s[80:81]                 // LDC clip if OOB. offset
s_mul_i32 s76, s[sgprStrideC1J], 256               // scale StrideC *= numRows(64) * bpe
s_add_u32  s[sgprSrdC+0], s[sgprSrdC+0], s76       // incToNextRow: gra SRD += inc(lower)
s_addc_u32  s[sgprSrdC+1], s[sgprSrdC+1], 0        // incToNextRow: gra SRD += inc(upper)
_buffer_load_b128 v[12:15], v9, s[sgprSrdC:sgprSrdC+3], 0, offen offset:0 // load C for beta calc
_v_add_lshl_u32 v9, v3, v0, 0x2                    // scaleToBpe: accumulate d0 lower and *= bpe into Cin addr
v_cndmask_b32 v9, -1, v9, s[80:81]                 // LDD clip if OOB. offset
/* (d1,vc1,d0,vc0)=(1,0,1,0) */
_v_add_co_u32 v10, vcc, v0, 8                      // coord0.1: coord0 += d0*sg0*VW + vc0
v_cmp_lt_u32 s[76:77], v10, s[sgprSizeI]           // coord0 < size0
v_cmp_lt_u32 s[80:81], v1, s[sgprSizeJ]            // coord1 < size1
s_and_b64 s[80:81], s[76:77], s[80:81]             // in0 && in1
_v_add_lshl_u32 v20, v2, v10, 0x2                  // scaleToBpe: accumulate d0 lower and *= bpe into Cin addr
v_cndmask_b32 v20, -1, v20, s[80:81]               // LDC clip if OOB. offset
_buffer_load_b128 v[44:47], v20, s[sgprSrdC:sgprSrdC+3], 0, offen offset:0 // load C for beta calc
_v_add_lshl_u32 v20, v3, v10, 0x2                  // scaleToBpe: accumulate d0 lower and *= bpe into Cin addr
v_cndmask_b32 v20, -1, v20, s[80:81]               // LDD clip if OOB. offset
/* (d1,vc1,d0,vc0)=(1,0,2,0) */
_v_add_co_u32 v10, vcc, v0, 16                     // coord0.1: coord0 += d0*sg0*VW + vc0
v_cmp_lt_u32 s[76:77], v10, s[sgprSizeI]           // coord0 < size0
v_cmp_lt_u32 s[80:81], v1, s[sgprSizeJ]            // coord1 < size1
s_and_b64 s[80:81], s[76:77], s[80:81]             // in0 && in1
_v_add_lshl_u32 v21, v2, v10, 0x2                  // scaleToBpe: accumulate d0 lower and *= bpe into Cin addr
v_cndmask_b32 v21, -1, v21, s[80:81]               // LDC clip if OOB. offset
_buffer_load_b128 v[52:55], v21, s[sgprSrdC:sgprSrdC+3], 0, offen offset:0 // load C for beta calc
_v_add_lshl_u32 v21, v3, v10, 0x2                  // scaleToBpe: accumulate d0 lower and *= bpe into Cin addr
v_cndmask_b32 v21, -1, v21, s[80:81]               // LDD clip if OOB. offset
/* (d1,vc1,d0,vc0)=(1,0,3,0) */
_v_add_co_u32 v10, vcc, v0, 24                     // coord0.1: coord0 += d0*sg0*VW + vc0
v_cmp_lt_u32 s[76:77], v10, s[sgprSizeI]           // coord0 < size0
v_cmp_lt_u32 s[80:81], v1, s[sgprSizeJ]            // coord1 < size1
s_and_b64 s[80:81], s[76:77], s[80:81]             // in0 && in1
_v_add_lshl_u32 v22, v2, v10, 0x2                  // scaleToBpe: accumulate d0 lower and *= bpe into Cin addr
v_cndmask_b32 v22, -1, v22, s[80:81]               // LDC clip if OOB. offset
_buffer_load_b128 v[60:63], v22, s[sgprSrdC:sgprSrdC+3], 0, offen offset:0 // load C for beta calc
_v_add_lshl_u32 v22, v3, v10, 0x2                  // scaleToBpe: accumulate d0 lower and *= bpe into Cin addr
v_cndmask_b32 v22, -1, v22, s[80:81]               // LDD clip if OOB. offset
v_accvgpr_read_b32 v[vgprValuC+16], acc16 // copy acc to vreg[16]
v_accvgpr_read_b32 v[vgprValuC+17], acc17 // copy acc to vreg[17]
v_accvgpr_read_b32 v[vgprValuC+18], acc18 // copy acc to vreg[18]
v_accvgpr_read_b32 v[vgprValuC+19], acc19 // copy acc to vreg[19]
v_accvgpr_read_b32 v[vgprValuC+48], acc20 // copy acc to vreg[20]
v_accvgpr_read_b32 v[vgprValuC+49], acc21 // copy acc to vreg[21]
v_accvgpr_read_b32 v[vgprValuC+50], acc22 // copy acc to vreg[22]
v_accvgpr_read_b32 v[vgprValuC+51], acc23 // copy acc to vreg[23]
v_accvgpr_read_b32 v[vgprValuC+56], acc24 // copy acc to vreg[24]
v_accvgpr_read_b32 v[vgprValuC+57], acc25 // copy acc to vreg[25]
v_accvgpr_read_b32 v[vgprValuC+58], acc26 // copy acc to vreg[26]
v_accvgpr_read_b32 v[vgprValuC+59], acc27 // copy acc to vreg[27]
v_accvgpr_read_b32 v[vgprValuC+64], acc28 // copy acc to vreg[28]
v_accvgpr_read_b32 v[vgprValuC+65], acc29 // copy acc to vreg[29]
v_accvgpr_read_b32 v[vgprValuC+66], acc30 // copy acc to vreg[30]
v_accvgpr_read_b32 v[vgprValuC+67], acc31 // copy acc to vreg[31]
s_nop 1                                            // 2 wait states required before reading vgpr

/* rC *= alpha batchElements=[(1, 0, 0, 0), (1, 1, 0, 0), (1, 2, 0, 0), (1, 3, 0, 0)] */
v_mul_lo_u32 v[vgprValuC+16], s[sgprAlpha], v[vgprValuC+16] // *= alpha
v_mul_lo_u32 v[vgprValuC+17], s[sgprAlpha], v[vgprValuC+17] // *= alpha
	;; [unrolled: 1-line block ×16, first 2 shown]
s_waitcnt vmcnt(0)                                 // wait C

/* apply mask, calc new C and issue writes */

/* StoreRemap: shift coord1 address */
s_mul_i32 s76, s[sgprStrideD1J], 256               // scale StrideD *= numRows(64) * bpe
s_add_u32  s[sgprSrdD+0], s[sgprSrdD+0], s76       // incToNextRow: gra SRD += inc(lower)
s_addc_u32  s[sgprSrdD+1], s[sgprSrdD+1], 0        // incToNextRow: gra SRD += inc(upper)
v_mov_b32 v10, 64                                  // set shift rows
_v_add_u32 v5, v5, v10                             // shift storeRemap coord1
v_mul_lo_u32 v12, s[sgprBeta], v12                 // C = C*beta
_v_add_u32 v[vgprValuC+16], v12, v[vgprValuC+16]   // finalSum = sum*alpha + C*beta
v_mul_lo_u32 v13, s[sgprBeta], v13                 // C = C*beta
_v_add_u32 v[vgprValuC+17], v13, v[vgprValuC+17]   // finalSum = sum*alpha + C*beta
	;; [unrolled: 2-line block ×4, first 2 shown]
_ds_store_b128 v7, v[16:19], offset:0              // storeRemap lw
v_mul_lo_u32 v44, s[sgprBeta], v44                 // C = C*beta
_v_add_u32 v[vgprValuC+48], v44, v[vgprValuC+48]   // finalSum = sum*alpha + C*beta
v_mul_lo_u32 v45, s[sgprBeta], v45                 // C = C*beta
_v_add_u32 v[vgprValuC+49], v45, v[vgprValuC+49]   // finalSum = sum*alpha + C*beta
v_mul_lo_u32 v46, s[sgprBeta], v46                 // C = C*beta
_v_add_u32 v[vgprValuC+50], v46, v[vgprValuC+50]   // finalSum = sum*alpha + C*beta
v_mul_lo_u32 v47, s[sgprBeta], v47                 // C = C*beta
_v_add_u32 v[vgprValuC+51], v47, v[vgprValuC+51]   // finalSum = sum*alpha + C*beta
_ds_store_b128 v7, v[48:51], offset:32             // storeRemap lw
v_mul_lo_u32 v52, s[sgprBeta], v52                 // C = C*beta
_v_add_u32 v[vgprValuC+56], v52, v[vgprValuC+56]   // finalSum = sum*alpha + C*beta
v_mul_lo_u32 v53, s[sgprBeta], v53                 // C = C*beta
_v_add_u32 v[vgprValuC+57], v53, v[vgprValuC+57]   // finalSum = sum*alpha + C*beta
v_mul_lo_u32 v54, s[sgprBeta], v54                 // C = C*beta
_v_add_u32 v[vgprValuC+58], v54, v[vgprValuC+58]   // finalSum = sum*alpha + C*beta
v_mul_lo_u32 v55, s[sgprBeta], v55                 // C = C*beta
_v_add_u32 v[vgprValuC+59], v55, v[vgprValuC+59]   // finalSum = sum*alpha + C*beta
_ds_store_b128 v7, v[56:59], offset:64             // storeRemap lw
	;; [unrolled: 9-line block ×3, first 2 shown]

/* Handle local read and global write */
s_waitcnt lgkmcnt(0)                               // wait for LDS write
s_barrier //wait all lds write finished

_ds_load_b128 v[12:15], v8, offset:0               // storeRemap lr
_ds_load_b128 v[16:19], v8, offset:1088            // storeRemap lr
_ds_load_b128 v[20:23], v8, offset:2176            // storeRemap lr
	;; [unrolled: 1-line block ×3, first 2 shown]

s_waitcnt lgkmcnt(3)                               // wait for LDS read
_v_add_u32 v11, v5, 0                              // coord1 += nColPerLoad
_v_add_u32 v10, v4, 0                              // coord0 += element index of load vector
_v_add_u32 v9, v6, 0                               // offset coord1 += nColPerLoad
v_cmp_lt_u32 s[76:77], v10, s[sgprSizeI]           // coord0 < size0
v_cmp_lt_u32 s[78:79], v11, s[sgprSizeJ]           // coord1 < size1
s_and_b64 s[78:79], s[76:77], s[78:79]             // in0 && in1
v_mul_lo_u32 v9, v9, s[sgprStrideD1J]              // coord1 element offset =  coord1 * StrideD
_v_add_lshl_u32 v9, v9, v10, 0x2                   // scale to BPE
v_cndmask_b32 v9, -1, v9, s[78:79]                 // clip if OOB. offset
_buffer_store_b128 v[12:15], v9, s[sgprSrdD:sgprSrdD+3], 0, offen, offset:0 // store D
s_waitcnt lgkmcnt(2)                               // wait for LDS read
_v_add_u32 v11, v5, 4                              // coord1 += nColPerLoad
_v_add_u32 v10, v4, 0                              // coord0 += element index of load vector
_v_add_u32 v9, v6, 4                               // offset coord1 += nColPerLoad
v_cmp_lt_u32 s[76:77], v10, s[sgprSizeI]           // coord0 < size0
v_cmp_lt_u32 s[78:79], v11, s[sgprSizeJ]           // coord1 < size1
s_and_b64 s[78:79], s[76:77], s[78:79]             // in0 && in1
v_mul_lo_u32 v9, v9, s[sgprStrideD1J]              // coord1 element offset =  coord1 * StrideD
_v_add_lshl_u32 v9, v9, v10, 0x2                   // scale to BPE
v_cndmask_b32 v9, -1, v9, s[78:79]                 // clip if OOB. offset
_buffer_store_b128 v[16:19], v9, s[sgprSrdD:sgprSrdD+3], 0, offen, offset:0 // store D
	;; [unrolled: 11-line block ×3, first 2 shown]
s_waitcnt lgkmcnt(0)                               // wait for LDS read
_v_add_u32 v11, v5, 12                             // coord1 += nColPerLoad
_v_add_u32 v10, v4, 0                              // coord0 += element index of load vector
_v_add_u32 v9, v6, 12                              // offset coord1 += nColPerLoad
v_cmp_lt_u32 s[76:77], v10, s[sgprSizeI]           // coord0 < size0
v_cmp_lt_u32 s[78:79], v11, s[sgprSizeJ]           // coord1 < size1
s_and_b64 s[78:79], s[76:77], s[78:79]             // in0 && in1
v_mul_lo_u32 v9, v9, s[sgprStrideD1J]              // coord1 element offset =  coord1 * StrideD
_v_add_lshl_u32 v9, v9, v10, 0x2                   // scale to BPE
v_cndmask_b32 v9, -1, v9, s[78:79]                 // clip if OOB. offset
_buffer_store_b128 v[44:47], v9, s[sgprSrdD:sgprSrdD+3], 0, offen, offset:0 // store D

s_barrier //wait all lds read finished
s_nop 0                                            // 1 wait state required when next inst writes vgprs held by previous dwordx4 store inst
s_mov_b32 s[sgprPreLoopLWVmcntCase], 0x4           // for optimizing next PreLoop LW vmcnt, set to Case4
s_branch label_GW_End_53                           // jump to end
label_GW_End_53:

s_mul_i32 s75, s[sgprNumWorkGroups0], s[sgprNumWorkGroups1] // Total WG-0x1
s_cmp_ge_u32 s[sgprSerialWorkGroupIter], s75       // outside legal WG?
s_cbranch_scc1 label_NoBranch_58                   // Only branch on scc0
s_getpc_B64 s[76:77]                               // addr of next instr
s_add_i32 s78, label_0013, 0x4                     // target branch offset
s_abs_i32 s78, s78                                 // abs offset
s_sub_u32 s76, s76, s78                            // sub target branch offset
s_subb_u32 s77, s77, 0                             // sub high and carry
s_setpc_b64 s[76:77]                               // branch to label_0013
label_NoBranch_58:
label_0059:  /// KernelEnd
s_endpgm                                           // Kernel End

